;; amdgpu-corpus repo=ROCm/rocFFT kind=compiled arch=gfx1030 opt=O3
	.text
	.amdgcn_target "amdgcn-amd-amdhsa--gfx1030"
	.amdhsa_code_object_version 6
	.protected	bluestein_single_fwd_len2500_dim1_half_op_CI_CI ; -- Begin function bluestein_single_fwd_len2500_dim1_half_op_CI_CI
	.globl	bluestein_single_fwd_len2500_dim1_half_op_CI_CI
	.p2align	8
	.type	bluestein_single_fwd_len2500_dim1_half_op_CI_CI,@function
bluestein_single_fwd_len2500_dim1_half_op_CI_CI: ; @bluestein_single_fwd_len2500_dim1_half_op_CI_CI
; %bb.0:
	s_load_dwordx4 s[12:15], s[4:5], 0x28
	v_mul_u32_u24_e32 v1, 0x107, v0
	v_mov_b32_e32 v25, 0
	s_mov_b32 s0, exec_lo
	v_lshrrev_b32_e32 v1, 16, v1
	v_add_nc_u32_e32 v24, s6, v1
	s_waitcnt lgkmcnt(0)
	v_cmpx_gt_u64_e64 s[12:13], v[24:25]
	s_cbranch_execz .LBB0_2
; %bb.1:
	s_clause 0x1
	s_load_dwordx4 s[0:3], s[4:5], 0x18
	s_load_dwordx4 s[8:11], s[4:5], 0x0
	v_mul_lo_u16 v1, 0xfa, v1
	s_mov_b32 s26, 0xeb1c432d
	s_mov_b32 s27, 0x3f3a36e2
	v_sub_nc_u16 v1, v0, v1
	v_and_b32_e32 v50, 0xffff, v1
	v_lshlrev_b32_e32 v45, 2, v50
	s_waitcnt lgkmcnt(0)
	s_load_dwordx4 s[16:19], s[0:1], 0x0
	s_clause 0x2
	global_load_dword v37, v45, s[8:9]
	global_load_dword v38, v45, s[8:9] offset:1000
	global_load_dword v39, v45, s[8:9] offset:2000
	v_add_co_u32 v27, s0, s8, v45
	v_add_co_ci_u32_e64 v28, null, s9, 0, s0
	v_add_nc_u32_e32 v48, 0x7c0, v45
	v_add_nc_u32_e32 v49, 0xfa0, v45
	;; [unrolled: 1-line block ×4, first 2 shown]
	s_waitcnt lgkmcnt(0)
	v_mad_u64_u32 v[2:3], null, s18, v24, 0
	v_mad_u64_u32 v[4:5], null, s16, v50, 0
	s_mul_i32 s0, s17, 0x3e8
	s_mul_hi_u32 s1, s16, 0x3e8
	s_mul_i32 s6, s16, 0x3e8
	s_add_i32 s1, s1, s0
	v_mov_b32_e32 v0, v3
	v_mov_b32_e32 v3, v5
	v_mad_u64_u32 v[5:6], null, s19, v24, v[0:1]
	v_mad_u64_u32 v[8:9], null, s17, v50, v[3:4]
	v_add_co_u32 v6, vcc_lo, 0x800, v27
	v_add_co_ci_u32_e32 v7, vcc_lo, 0, v28, vcc_lo
	v_mov_b32_e32 v3, v5
	v_add_co_u32 v9, vcc_lo, 0x1000, v27
	v_mov_b32_e32 v5, v8
	v_add_co_ci_u32_e32 v10, vcc_lo, 0, v28, vcc_lo
	v_lshlrev_b64 v[2:3], 2, v[2:3]
	v_add_co_u32 v11, vcc_lo, 0x1800, v27
	v_add_co_ci_u32_e32 v12, vcc_lo, 0, v28, vcc_lo
	v_lshlrev_b64 v[4:5], 2, v[4:5]
	v_add_co_u32 v0, vcc_lo, s14, v2
	v_add_co_ci_u32_e32 v3, vcc_lo, s15, v3, vcc_lo
	s_clause 0x1
	global_load_dword v40, v[6:7], off offset:952
	global_load_dword v41, v[6:7], off offset:1952
	v_add_co_u32 v2, vcc_lo, v0, v4
	v_add_co_ci_u32_e32 v3, vcc_lo, v3, v5, vcc_lo
	v_add_co_u32 v0, null, 0xfa, v50
	v_add_co_u32 v4, vcc_lo, v2, s6
	v_add_co_ci_u32_e32 v5, vcc_lo, s1, v3, vcc_lo
	global_load_dword v6, v[2:3], off
	v_add_co_u32 v2, vcc_lo, v4, s6
	v_add_co_ci_u32_e32 v3, vcc_lo, s1, v5, vcc_lo
	global_load_dword v8, v[4:5], off
	s_clause 0x1
	global_load_dword v42, v[9:10], off offset:904
	global_load_dword v43, v[9:10], off offset:1904
	v_add_co_u32 v4, vcc_lo, v2, s6
	v_add_co_ci_u32_e32 v5, vcc_lo, s1, v3, vcc_lo
	global_load_dword v9, v[2:3], off
	global_load_dword v44, v[11:12], off offset:856
	v_add_co_u32 v2, vcc_lo, v4, s6
	v_add_co_ci_u32_e32 v3, vcc_lo, s1, v5, vcc_lo
	s_clause 0x1
	global_load_dword v10, v[4:5], off
	global_load_dword v13, v[2:3], off
	v_add_co_u32 v4, vcc_lo, v2, s6
	v_add_co_ci_u32_e32 v5, vcc_lo, s1, v3, vcc_lo
	v_add_co_u32 v2, vcc_lo, v4, s6
	v_add_co_ci_u32_e32 v3, vcc_lo, s1, v5, vcc_lo
	global_load_dword v14, v[4:5], off
	v_add_co_u32 v4, vcc_lo, v2, s6
	v_add_co_ci_u32_e32 v5, vcc_lo, s1, v3, vcc_lo
	global_load_dword v15, v[2:3], off
	;; [unrolled: 3-line block ×3, first 2 shown]
	v_add_co_u32 v4, vcc_lo, v2, s6
	v_add_co_ci_u32_e32 v5, vcc_lo, s1, v3, vcc_lo
	v_add_co_u32 v25, vcc_lo, 0x2000, v27
	v_add_co_ci_u32_e32 v26, vcc_lo, 0, v28, vcc_lo
	global_load_dword v17, v[2:3], off
	global_load_dword v4, v[4:5], off
	s_clause 0x1
	global_load_dword v36, v[11:12], off offset:1856
	global_load_dword v35, v[25:26], off offset:808
	v_and_b32_e32 v2, 0xff, v1
	s_load_dwordx4 s[0:3], s[2:3], 0x0
	v_mov_b32_e32 v3, 0xcccd
	v_mul_lo_u16 v5, 0xcd, v2
	v_mul_lo_u16 v2, v2, 41
	v_mul_u32_u24_sdwa v3, v0, v3 dst_sel:DWORD dst_unused:UNUSED_PAD src0_sel:WORD_0 src1_sel:DWORD
	v_lshrrev_b16 v7, 11, v5
	v_lshrrev_b16 v2, 11, v2
	v_lshrrev_b32_e32 v3, 19, v3
	v_mul_lo_u16 v19, v7, 10
	s_waitcnt lgkmcnt(0)
	s_mul_hi_u32 s28, s0, 0x3e8
	s_mul_i32 s25, s0, 0x3e8
	s_waitcnt vmcnt(14)
	v_lshrrev_b32_e32 v11, 16, v6
	v_mul_f16_sdwa v5, v37, v6 dst_sel:DWORD dst_unused:UNUSED_PAD src0_sel:WORD_1 src1_sel:DWORD
	s_waitcnt vmcnt(13)
	v_lshrrev_b32_e32 v18, 16, v8
	v_mul_f16_sdwa v20, v38, v8 dst_sel:DWORD dst_unused:UNUSED_PAD src0_sel:WORD_1 src1_sel:DWORD
	v_mul_f16_sdwa v12, v37, v11 dst_sel:DWORD dst_unused:UNUSED_PAD src0_sel:WORD_1 src1_sel:DWORD
	v_fma_f16 v5, v37, v11, -v5
	s_waitcnt vmcnt(10)
	v_lshrrev_b32_e32 v11, 16, v9
	v_fmac_f16_e32 v12, v37, v6
	v_mul_f16_sdwa v6, v38, v18 dst_sel:DWORD dst_unused:UNUSED_PAD src0_sel:WORD_1 src1_sel:DWORD
	v_fma_f16 v18, v38, v18, -v20
	v_mul_f16_sdwa v20, v39, v9 dst_sel:DWORD dst_unused:UNUSED_PAD src0_sel:WORD_1 src1_sel:DWORD
	v_pack_b32_f16 v5, v12, v5
	v_fmac_f16_e32 v6, v38, v8
	v_mul_f16_sdwa v8, v39, v11 dst_sel:DWORD dst_unused:UNUSED_PAD src0_sel:WORD_1 src1_sel:DWORD
	s_waitcnt vmcnt(8)
	v_lshrrev_b32_e32 v12, 16, v10
	v_fma_f16 v11, v39, v11, -v20
	v_mul_f16_sdwa v20, v40, v10 dst_sel:DWORD dst_unused:UNUSED_PAD src0_sel:WORD_1 src1_sel:DWORD
	v_pack_b32_f16 v6, v6, v18
	v_fmac_f16_e32 v8, v39, v9
	v_mul_f16_sdwa v9, v40, v12 dst_sel:DWORD dst_unused:UNUSED_PAD src0_sel:WORD_1 src1_sel:DWORD
	s_waitcnt vmcnt(7)
	v_lshrrev_b32_e32 v18, 16, v13
	v_mul_f16_sdwa v21, v41, v13 dst_sel:DWORD dst_unused:UNUSED_PAD src0_sel:WORD_1 src1_sel:DWORD
	v_fma_f16 v12, v40, v12, -v20
	v_pack_b32_f16 v8, v8, v11
	v_fmac_f16_e32 v9, v40, v10
	v_mul_f16_sdwa v10, v41, v18 dst_sel:DWORD dst_unused:UNUSED_PAD src0_sel:WORD_1 src1_sel:DWORD
	v_fma_f16 v11, v41, v18, -v21
	s_waitcnt vmcnt(6)
	v_lshrrev_b32_e32 v18, 16, v14
	v_mul_f16_sdwa v20, v42, v14 dst_sel:DWORD dst_unused:UNUSED_PAD src0_sel:WORD_1 src1_sel:DWORD
	v_pack_b32_f16 v9, v9, v12
	v_fmac_f16_e32 v10, v41, v13
	s_waitcnt vmcnt(5)
	v_lshrrev_b32_e32 v12, 16, v15
	v_mul_f16_sdwa v13, v42, v18 dst_sel:DWORD dst_unused:UNUSED_PAD src0_sel:WORD_1 src1_sel:DWORD
	v_fma_f16 v18, v42, v18, -v20
	v_mul_f16_sdwa v20, v43, v15 dst_sel:DWORD dst_unused:UNUSED_PAD src0_sel:WORD_1 src1_sel:DWORD
	v_pack_b32_f16 v10, v10, v11
	v_mul_f16_sdwa v11, v43, v12 dst_sel:DWORD dst_unused:UNUSED_PAD src0_sel:WORD_1 src1_sel:DWORD
	v_fmac_f16_e32 v13, v42, v14
	s_waitcnt vmcnt(4)
	v_lshrrev_b32_e32 v14, 16, v16
	v_fma_f16 v12, v43, v12, -v20
	v_mul_f16_sdwa v20, v44, v16 dst_sel:DWORD dst_unused:UNUSED_PAD src0_sel:WORD_1 src1_sel:DWORD
	v_fmac_f16_e32 v11, v43, v15
	s_waitcnt vmcnt(2)
	v_lshrrev_b32_e32 v22, 16, v4
	v_lshrrev_b32_e32 v15, 16, v17
	v_mul_f16_sdwa v21, v44, v14 dst_sel:DWORD dst_unused:UNUSED_PAD src0_sel:WORD_1 src1_sel:DWORD
	v_fma_f16 v14, v44, v14, -v20
	s_waitcnt vmcnt(1)
	v_mul_f16_sdwa v20, v36, v17 dst_sel:DWORD dst_unused:UNUSED_PAD src0_sel:WORD_1 src1_sel:DWORD
	s_waitcnt vmcnt(0)
	v_mul_f16_sdwa v29, v35, v4 dst_sel:DWORD dst_unused:UNUSED_PAD src0_sel:WORD_1 src1_sel:DWORD
	v_mul_f16_sdwa v23, v36, v15 dst_sel:DWORD dst_unused:UNUSED_PAD src0_sel:WORD_1 src1_sel:DWORD
	;; [unrolled: 1-line block ×3, first 2 shown]
	v_fmac_f16_e32 v21, v44, v16
	v_fma_f16 v15, v36, v15, -v20
	v_fma_f16 v16, v35, v22, -v29
	v_fmac_f16_e32 v23, v36, v17
	v_fmac_f16_e32 v30, v35, v4
	v_pack_b32_f16 v4, v13, v18
	v_pack_b32_f16 v11, v11, v12
	;; [unrolled: 1-line block ×5, first 2 shown]
	ds_write2_b32 v45, v5, v6 offset1:250
	ds_write2_b32 v48, v8, v9 offset0:4 offset1:254
	ds_write2_b32 v49, v10, v4 offset1:250
	ds_write2_b32 v47, v11, v12 offset0:4 offset1:254
	ds_write2_b32 v46, v13, v14 offset1:250
	s_waitcnt lgkmcnt(0)
	s_barrier
	buffer_gl0_inv
	ds_read2_b32 v[8:9], v48 offset0:4 offset1:254
	ds_read2_b32 v[10:11], v49 offset1:250
	ds_read2_b32 v[12:13], v47 offset0:4 offset1:254
	ds_read2_b32 v[14:15], v46 offset1:250
	ds_read2_b32 v[16:17], v45 offset1:250
	v_mul_lo_u16 v4, v3, 10
	v_sub_nc_u16 v6, v1, v19
	v_mul_lo_u16 v18, v1, 10
	s_waitcnt lgkmcnt(0)
	s_barrier
	v_sub_nc_u16 v5, v0, v4
	v_mov_b32_e32 v4, 2
	v_and_b32_e32 v6, 0xff, v6
	buffer_gl0_inv
	v_lshlrev_b32_e32 v0, 4, v0
	v_lshlrev_b16 v19, 2, v5
	v_lshlrev_b32_sdwa v29, v4, v18 dst_sel:DWORD dst_unused:UNUSED_PAD src0_sel:DWORD src1_sel:WORD_0
	v_lshlrev_b32_e32 v18, 4, v6
	v_mad_u16 v3, v3, 50, v5
	v_lshlrev_b32_sdwa v19, v4, v19 dst_sel:DWORD dst_unused:UNUSED_PAD src0_sel:DWORD src1_sel:WORD_0
	v_sub_f16_e32 v30, v8, v10
	v_add_f16_e32 v20, v10, v12
	v_sub_f16_e32 v23, v14, v12
	v_add_f16_e32 v31, v8, v14
	v_sub_f16_e32 v32, v12, v14
	v_sub_f16_e32 v33, v10, v8
	v_sub_f16_sdwa v54, v8, v10 dst_sel:DWORD dst_unused:UNUSED_PAD src0_sel:WORD_1 src1_sel:WORD_1
	v_sub_f16_sdwa v55, v14, v12 dst_sel:DWORD dst_unused:UNUSED_PAD src0_sel:WORD_1 src1_sel:WORD_1
	v_add_f16_e32 v57, v11, v13
	v_sub_f16_sdwa v58, v9, v15 dst_sel:DWORD dst_unused:UNUSED_PAD src0_sel:WORD_1 src1_sel:WORD_1
	v_sub_f16_e32 v60, v9, v11
	v_add_f16_e32 v61, v9, v15
	v_sub_f16_e32 v62, v11, v9
	v_pk_add_f16 v63, v17, v9
	v_add_f16_sdwa v64, v11, v13 dst_sel:DWORD dst_unused:UNUSED_PAD src0_sel:WORD_1 src1_sel:WORD_1
	v_sub_f16_sdwa v66, v9, v11 dst_sel:DWORD dst_unused:UNUSED_PAD src0_sel:WORD_1 src1_sel:WORD_1
	v_sub_f16_sdwa v67, v11, v9 dst_sel:DWORD dst_unused:UNUSED_PAD src0_sel:WORD_1 src1_sel:WORD_1
	v_sub_f16_e32 v68, v9, v15
	v_add_f16_sdwa v9, v9, v15 dst_sel:DWORD dst_unused:UNUSED_PAD src0_sel:WORD_1 src1_sel:WORD_1
	v_lshrrev_b32_e32 v70, 16, v17
	v_pk_add_f16 v34, v16, v8
	v_add_f16_sdwa v51, v10, v12 dst_sel:DWORD dst_unused:UNUSED_PAD src0_sel:WORD_1 src1_sel:WORD_1
	v_add_f16_sdwa v56, v8, v14 dst_sel:DWORD dst_unused:UNUSED_PAD src0_sel:WORD_1 src1_sel:WORD_1
	v_sub_f16_sdwa v59, v11, v13 dst_sel:DWORD dst_unused:UNUSED_PAD src0_sel:WORD_1 src1_sel:WORD_1
	v_sub_f16_e32 v65, v11, v13
	v_lshrrev_b32_e32 v69, 16, v16
	v_sub_f16_e32 v72, v15, v13
	v_fma_f16 v20, -0.5, v20, v16
	v_fma_f16 v16, -0.5, v31, v16
	;; [unrolled: 1-line block ×4, first 2 shown]
	v_add_f16_e32 v23, v30, v23
	v_add_f16_e32 v30, v33, v32
	;; [unrolled: 1-line block ×3, first 2 shown]
	v_fma_f16 v55, -0.5, v64, v70
	v_fmac_f16_e32 v70, -0.5, v9
	v_sub_f16_e32 v73, v13, v15
	v_sub_f16_sdwa v21, v8, v14 dst_sel:DWORD dst_unused:UNUSED_PAD src0_sel:WORD_1 src1_sel:WORD_1
	v_sub_f16_sdwa v22, v10, v12 dst_sel:DWORD dst_unused:UNUSED_PAD src0_sel:WORD_1 src1_sel:WORD_1
	v_sub_f16_e32 v52, v8, v14
	v_sub_f16_e32 v53, v10, v12
	v_sub_f16_sdwa v8, v10, v8 dst_sel:DWORD dst_unused:UNUSED_PAD src0_sel:WORD_1 src1_sel:WORD_1
	v_sub_f16_sdwa v75, v13, v15 dst_sel:DWORD dst_unused:UNUSED_PAD src0_sel:WORD_1 src1_sel:WORD_1
	v_pk_add_f16 v10, v34, v10
	v_pk_add_f16 v11, v63, v11
	v_fma_f16 v33, -0.5, v51, v69
	v_fmac_f16_e32 v69, -0.5, v56
	v_add_f16_e32 v34, v60, v72
	v_fmamk_f16 v60, v58, 0x3b9c, v31
	v_fmamk_f16 v61, v59, 0xbb9c, v17
	v_fmac_f16_e32 v17, 0x3b9c, v59
	v_fmamk_f16 v63, v65, 0x3b9c, v70
	v_fmac_f16_e32 v70, 0xbb9c, v65
	v_sub_f16_sdwa v74, v15, v13 dst_sel:DWORD dst_unused:UNUSED_PAD src0_sel:WORD_1 src1_sel:WORD_1
	v_add_f16_e32 v51, v62, v73
	v_fmac_f16_e32 v31, 0xbb9c, v58
	v_fmamk_f16 v62, v68, 0xbb9c, v55
	v_fmac_f16_e32 v55, 0x3b9c, v68
	v_sub_f16_sdwa v71, v12, v14 dst_sel:DWORD dst_unused:UNUSED_PAD src0_sel:WORD_1 src1_sel:WORD_1
	v_add_f16_e32 v9, v67, v75
	v_pk_add_f16 v10, v10, v12
	v_pk_add_f16 v11, v11, v13
	v_fmamk_f16 v12, v21, 0x3b9c, v20
	v_fmac_f16_e32 v20, 0xbb9c, v21
	v_fmamk_f16 v57, v53, 0x3b9c, v69
	v_fmac_f16_e32 v69, 0xbb9c, v53
	v_fmac_f16_e32 v60, 0x38b4, v59
	;; [unrolled: 1-line block ×6, first 2 shown]
	v_add_f16_e32 v54, v66, v74
	v_fmamk_f16 v13, v22, 0xbb9c, v16
	v_fmac_f16_e32 v16, 0x3b9c, v22
	v_fmac_f16_e32 v31, 0xb8b4, v59
	;; [unrolled: 1-line block ×3, first 2 shown]
	v_add_f16_e32 v8, v8, v71
	v_fmamk_f16 v56, v52, 0xbb9c, v33
	v_pk_add_f16 v10, v10, v14
	v_pk_add_f16 v11, v11, v15
	v_fmac_f16_e32 v12, 0x38b4, v22
	v_fmac_f16_e32 v20, 0xb8b4, v22
	;; [unrolled: 1-line block ×21, first 2 shown]
	v_pk_add_f16 v8, v10, v11
	v_pk_add_f16 v11, v10, v11 neg_lo:[0,1] neg_hi:[0,1]
	v_mul_f16_e32 v9, 0x3a79, v60
	v_mul_f16_e32 v10, 0x3b9c, v63
	;; [unrolled: 1-line block ×6, first 2 shown]
	v_fmac_f16_e32 v33, 0x38b4, v53
	v_fmac_f16_e32 v13, 0x34f2, v30
	;; [unrolled: 1-line block ×3, first 2 shown]
	v_mul_f16_e32 v15, 0xba79, v31
	v_mul_f16_e32 v30, 0xba79, v55
	v_fmac_f16_e32 v56, 0x34f2, v32
	v_fmac_f16_e32 v9, 0x38b4, v62
	;; [unrolled: 1-line block ×10, first 2 shown]
	v_add_f16_e32 v17, v12, v9
	v_add_f16_e32 v31, v13, v10
	;; [unrolled: 1-line block ×7, first 2 shown]
	v_sub_f16_e32 v54, v12, v9
	v_add_f16_e32 v55, v33, v30
	v_sub_f16_e32 v10, v13, v10
	v_sub_f16_e32 v16, v16, v14
	;; [unrolled: 1-line block ×7, first 2 shown]
	v_pack_b32_f16 v9, v17, v51
	v_pack_b32_f16 v13, v32, v53
	;; [unrolled: 1-line block ×8, first 2 shown]
	ds_write2_b64 v29, v[8:9], v[12:13] offset1:1
	ds_write2_b64 v29, v[10:11], v[14:15] offset0:2 offset1:3
	ds_write_b64 v29, v[16:17] offset:32
	s_waitcnt lgkmcnt(0)
	s_barrier
	buffer_gl0_inv
	s_clause 0x1
	global_load_dwordx4 v[20:23], v18, s[10:11]
	global_load_dwordx4 v[16:19], v19, s[10:11]
	ds_read2_b32 v[8:9], v48 offset0:4 offset1:254
	ds_read2_b32 v[10:11], v49 offset1:250
	ds_read2_b32 v[12:13], v47 offset0:4 offset1:254
	ds_read2_b32 v[14:15], v46 offset1:250
	v_mov_b32_e32 v30, 50
	v_mul_lo_u16 v31, v2, 50
	v_lshlrev_b32_sdwa v55, v4, v3 dst_sel:DWORD dst_unused:UNUSED_PAD src0_sel:DWORD src1_sel:WORD_0
	v_mul_u32_u24_sdwa v7, v7, v30 dst_sel:DWORD dst_unused:UNUSED_PAD src0_sel:WORD_0 src1_sel:DWORD
	v_sub_nc_u16 v1, v1, v31
	ds_read2_b32 v[30:31], v45 offset1:250
	s_waitcnt vmcnt(0) lgkmcnt(0)
	s_barrier
	v_add_lshl_u32 v54, v7, v6, 2
	v_and_b32_e32 v1, 0xff, v1
	buffer_gl0_inv
	v_lshrrev_b32_e32 v3, 16, v8
	v_lshrrev_b32_e32 v4, 16, v10
	v_lshrrev_b32_e32 v7, 16, v12
	v_lshrrev_b32_e32 v32, 16, v14
	v_lshrrev_b32_e32 v33, 16, v9
	v_lshrrev_b32_e32 v34, 16, v11
	v_lshrrev_b32_e32 v51, 16, v13
	v_lshrrev_b32_e32 v52, 16, v15
	v_mad_u64_u32 v[5:6], null, v1, 36, s[10:11]
	v_lshrrev_b32_e32 v53, 16, v30
	v_lshrrev_b32_e32 v56, 16, v31
	v_mul_f16_sdwa v57, v3, v20 dst_sel:DWORD dst_unused:UNUSED_PAD src0_sel:DWORD src1_sel:WORD_1
	v_mul_f16_sdwa v58, v8, v20 dst_sel:DWORD dst_unused:UNUSED_PAD src0_sel:DWORD src1_sel:WORD_1
	;; [unrolled: 1-line block ×16, first 2 shown]
	v_fma_f16 v8, v8, v20, -v57
	v_fma_f16 v9, v9, v16, -v59
	;; [unrolled: 1-line block ×4, first 2 shown]
	v_fmac_f16_e32 v58, v3, v20
	v_fmac_f16_e32 v61, v4, v21
	;; [unrolled: 1-line block ×4, first 2 shown]
	v_fma_f16 v3, v12, v22, -v64
	v_fma_f16 v4, v14, v23, -v68
	;; [unrolled: 1-line block ×4, first 2 shown]
	v_fmac_f16_e32 v63, v33, v16
	v_fmac_f16_e32 v65, v34, v17
	;; [unrolled: 1-line block ×4, first 2 shown]
	v_sub_f16_e32 v13, v8, v10
	v_sub_f16_e32 v14, v4, v3
	;; [unrolled: 1-line block ×6, first 2 shown]
	v_add_f16_e32 v51, v61, v66
	v_add_f16_e32 v57, v53, v58
	v_sub_f16_e32 v62, v9, v11
	v_sub_f16_e32 v64, v12, v7
	v_add_f16_e32 v82, v30, v8
	v_add_f16_e32 v83, v10, v3
	;; [unrolled: 1-line block ×6, first 2 shown]
	v_sub_f16_e32 v59, v61, v58
	v_sub_f16_e32 v60, v66, v67
	v_add_f16_e32 v68, v11, v7
	v_add_f16_e32 v77, v65, v70
	;; [unrolled: 1-line block ×4, first 2 shown]
	v_sub_f16_e32 v84, v10, v3
	v_sub_f16_e32 v58, v58, v67
	;; [unrolled: 1-line block ×3, first 2 shown]
	v_add_f16_e32 v13, v13, v14
	v_add_f16_e32 v14, v15, v32
	;; [unrolled: 1-line block ×3, first 2 shown]
	v_fma_f16 v32, -0.5, v51, v53
	v_add_f16_e32 v34, v62, v64
	v_add_f16_e32 v10, v82, v10
	;; [unrolled: 1-line block ×3, first 2 shown]
	v_fma_f16 v64, -0.5, v83, v30
	v_sub_f16_e32 v73, v11, v9
	v_sub_f16_e32 v85, v61, v66
	;; [unrolled: 1-line block ×3, first 2 shown]
	v_fmac_f16_e32 v53, -0.5, v52
	v_add_f16_e32 v11, v71, v11
	v_add_f16_e32 v61, v79, v65
	v_fma_f16 v30, -0.5, v88, v30
	v_sub_f16_e32 v75, v63, v65
	v_sub_f16_e32 v80, v65, v63
	;; [unrolled: 1-line block ×4, first 2 shown]
	v_add_f16_e32 v33, v59, v60
	v_fma_f16 v51, -0.5, v68, v31
	v_fma_f16 v60, -0.5, v77, v56
	v_sub_f16_e32 v87, v65, v70
	v_fmac_f16_e32 v31, -0.5, v69
	v_fmac_f16_e32 v56, -0.5, v78
	v_add_f16_e32 v3, v10, v3
	v_add_f16_e32 v10, v57, v66
	v_fmamk_f16 v57, v58, 0x3b9c, v64
	v_fmamk_f16 v65, v8, 0xbb9c, v32
	v_sub_f16_e32 v74, v7, v12
	v_add_f16_e32 v7, v11, v7
	v_add_f16_e32 v11, v61, v70
	v_fmamk_f16 v61, v85, 0xbb9c, v30
	v_fmac_f16_e32 v30, 0x3b9c, v85
	v_fmamk_f16 v66, v84, 0x3b9c, v53
	v_fmac_f16_e32 v53, 0xbb9c, v84
	v_fmac_f16_e32 v64, 0xbb9c, v58
	;; [unrolled: 1-line block ×3, first 2 shown]
	v_sub_f16_e32 v76, v72, v70
	v_sub_f16_e32 v81, v70, v72
	v_fmamk_f16 v68, v63, 0x3b9c, v51
	v_fmamk_f16 v70, v9, 0xbb9c, v60
	v_fmac_f16_e32 v51, 0xbb9c, v63
	v_fmamk_f16 v69, v87, 0xbb9c, v31
	v_fmac_f16_e32 v31, 0x3b9c, v87
	v_fmac_f16_e32 v60, 0x3b9c, v9
	v_fmamk_f16 v71, v86, 0x3b9c, v56
	v_fmac_f16_e32 v56, 0xbb9c, v86
	v_fmac_f16_e32 v57, 0x38b4, v85
	;; [unrolled: 1-line block ×9, first 2 shown]
	v_add_f16_e32 v59, v75, v76
	v_fmac_f16_e32 v68, 0x38b4, v87
	v_fmac_f16_e32 v70, 0xb8b4, v86
	v_add_f16_e32 v52, v73, v74
	v_add_f16_e32 v62, v80, v81
	v_fmac_f16_e32 v51, 0xb8b4, v87
	v_fmac_f16_e32 v69, 0x38b4, v63
	;; [unrolled: 1-line block ×6, first 2 shown]
	v_add_f16_e32 v3, v3, v4
	v_add_f16_e32 v4, v10, v67
	;; [unrolled: 1-line block ×4, first 2 shown]
	v_fmac_f16_e32 v57, 0x34f2, v13
	v_fmac_f16_e32 v65, 0x34f2, v15
	;; [unrolled: 1-line block ×16, first 2 shown]
	v_pack_b32_f16 v3, v3, v4
	v_pack_b32_f16 v4, v7, v8
	;; [unrolled: 1-line block ×10, first 2 shown]
	ds_write2_b32 v54, v3, v7 offset1:10
	ds_write2_b32 v54, v8, v9 offset0:20 offset1:30
	ds_write_b32 v54, v10 offset:160
	ds_write2_b32 v55, v4, v11 offset1:10
	ds_write2_b32 v55, v12, v13 offset0:20 offset1:30
	ds_write_b32 v55, v14 offset:160
	s_waitcnt lgkmcnt(0)
	s_barrier
	buffer_gl0_inv
	s_clause 0x2
	global_load_dwordx4 v[8:11], v[5:6], off offset:160
	global_load_dwordx4 v[12:15], v[5:6], off offset:176
	global_load_dword v51, v[5:6], off offset:192
	ds_read2_b32 v[3:4], v48 offset0:4 offset1:254
	ds_read2_b32 v[5:6], v49 offset1:250
	ds_read2_b32 v[30:31], v47 offset0:4 offset1:254
	ds_read2_b32 v[32:33], v46 offset1:250
	ds_read2_b32 v[56:57], v45 offset1:250
	v_mov_b32_e32 v7, 0x1f4
	s_waitcnt vmcnt(0) lgkmcnt(0)
	s_barrier
	buffer_gl0_inv
	v_mul_u32_u24_sdwa v2, v2, v7 dst_sel:DWORD dst_unused:UNUSED_PAD src0_sel:WORD_0 src1_sel:DWORD
	v_add_lshl_u32 v52, v2, v1, 2
	v_lshlrev_b32_e32 v1, 4, v50
	v_add_nc_u32_e32 v53, 0x400, v52
	v_lshrrev_b32_e32 v2, 16, v3
	v_lshrrev_b32_e32 v7, 16, v4
	;; [unrolled: 1-line block ×10, first 2 shown]
	v_mul_f16_sdwa v65, v2, v9 dst_sel:DWORD dst_unused:UNUSED_PAD src0_sel:DWORD src1_sel:WORD_1
	v_mul_f16_sdwa v66, v7, v10 dst_sel:DWORD dst_unused:UNUSED_PAD src0_sel:DWORD src1_sel:WORD_1
	v_mul_f16_sdwa v67, v3, v9 dst_sel:DWORD dst_unused:UNUSED_PAD src0_sel:DWORD src1_sel:WORD_1
	v_mul_f16_sdwa v68, v34, v11 dst_sel:DWORD dst_unused:UNUSED_PAD src0_sel:DWORD src1_sel:WORD_1
	v_mul_f16_sdwa v69, v58, v12 dst_sel:DWORD dst_unused:UNUSED_PAD src0_sel:DWORD src1_sel:WORD_1
	v_mul_f16_sdwa v70, v4, v10 dst_sel:DWORD dst_unused:UNUSED_PAD src0_sel:DWORD src1_sel:WORD_1
	v_mul_f16_sdwa v71, v5, v11 dst_sel:DWORD dst_unused:UNUSED_PAD src0_sel:DWORD src1_sel:WORD_1
	v_mul_f16_sdwa v72, v6, v12 dst_sel:DWORD dst_unused:UNUSED_PAD src0_sel:DWORD src1_sel:WORD_1
	v_mul_f16_sdwa v73, v59, v13 dst_sel:DWORD dst_unused:UNUSED_PAD src0_sel:DWORD src1_sel:WORD_1
	v_mul_f16_sdwa v74, v60, v14 dst_sel:DWORD dst_unused:UNUSED_PAD src0_sel:DWORD src1_sel:WORD_1
	v_mul_f16_sdwa v75, v30, v13 dst_sel:DWORD dst_unused:UNUSED_PAD src0_sel:DWORD src1_sel:WORD_1
	v_mul_f16_sdwa v76, v61, v15 dst_sel:DWORD dst_unused:UNUSED_PAD src0_sel:DWORD src1_sel:WORD_1
	v_mul_f16_sdwa v77, v62, v51 dst_sel:DWORD dst_unused:UNUSED_PAD src0_sel:DWORD src1_sel:WORD_1
	v_mul_f16_sdwa v78, v31, v14 dst_sel:DWORD dst_unused:UNUSED_PAD src0_sel:DWORD src1_sel:WORD_1
	v_mul_f16_sdwa v79, v32, v15 dst_sel:DWORD dst_unused:UNUSED_PAD src0_sel:DWORD src1_sel:WORD_1
	v_mul_f16_sdwa v80, v33, v51 dst_sel:DWORD dst_unused:UNUSED_PAD src0_sel:DWORD src1_sel:WORD_1
	v_mul_f16_sdwa v81, v57, v8 dst_sel:DWORD dst_unused:UNUSED_PAD src0_sel:DWORD src1_sel:WORD_1
	v_mul_f16_sdwa v82, v63, v8 dst_sel:DWORD dst_unused:UNUSED_PAD src0_sel:DWORD src1_sel:WORD_1
	v_fma_f16 v3, v3, v9, -v65
	v_fma_f16 v4, v4, v10, -v66
	;; [unrolled: 1-line block ×8, first 2 shown]
	v_fmac_f16_e32 v67, v2, v9
	v_fmac_f16_e32 v70, v7, v10
	;; [unrolled: 1-line block ×9, first 2 shown]
	v_fma_f16 v2, v57, v8, -v82
	v_add_f16_e32 v57, v56, v3
	v_sub_f16_e32 v58, v5, v3
	v_sub_f16_e32 v59, v30, v32
	v_add_f16_e32 v60, v6, v31
	v_add_f16_e32 v61, v4, v33
	;; [unrolled: 1-line block ×3, first 2 shown]
	v_sub_f16_e32 v63, v6, v4
	v_sub_f16_e32 v65, v31, v33
	v_add_f16_e32 v66, v72, v78
	v_add_f16_e32 v69, v81, v70
	v_sub_f16_e32 v73, v72, v70
	v_sub_f16_e32 v74, v78, v80
	;; [unrolled: 1-line block ×6, first 2 shown]
	v_add_f16_e32 v84, v71, v75
	v_add_f16_e32 v85, v67, v79
	;; [unrolled: 1-line block ×6, first 2 shown]
	v_sub_f16_e32 v89, v4, v6
	v_add_f16_e32 v58, v58, v59
	v_sub_f16_e32 v59, v70, v72
	v_fma_f16 v60, -0.5, v60, v2
	v_fmac_f16_e32 v2, -0.5, v61
	v_add_f16_e32 v63, v63, v65
	v_sub_f16_e32 v65, v5, v30
	v_fma_f16 v66, -0.5, v66, v81
	v_add_f16_e32 v73, v73, v74
	v_sub_f16_e32 v74, v6, v31
	v_add_f16_e32 v76, v76, v77
	v_sub_f16_e32 v77, v72, v78
	v_sub_f16_e32 v4, v4, v33
	;; [unrolled: 1-line block ×3, first 2 shown]
	v_add_f16_e32 v82, v82, v83
	v_fma_f16 v83, -0.5, v84, v64
	v_fmac_f16_e32 v64, -0.5, v85
	v_add_f16_e32 v5, v57, v5
	v_add_f16_e32 v57, v86, v71
	;; [unrolled: 1-line block ×4, first 2 shown]
	v_fmac_f16_e32 v81, -0.5, v68
	v_sub_f16_e32 v87, v71, v67
	v_sub_f16_e32 v88, v75, v79
	v_fma_f16 v7, -0.5, v7, v56
	v_fmac_f16_e32 v56, -0.5, v34
	v_sub_f16_e32 v34, v33, v31
	v_sub_f16_e32 v61, v80, v78
	;; [unrolled: 1-line block ×4, first 2 shown]
	v_add_f16_e32 v5, v5, v30
	v_add_f16_e32 v30, v57, v75
	;; [unrolled: 1-line block ×4, first 2 shown]
	v_fmamk_f16 v69, v65, 0x3b9c, v64
	v_fmac_f16_e32 v64, 0xbb9c, v65
	v_fmamk_f16 v71, v70, 0x3b9c, v60
	v_fmac_f16_e32 v60, 0xbb9c, v70
	;; [unrolled: 2-line block ×3, first 2 shown]
	v_fmamk_f16 v75, v4, 0xbb9c, v66
	v_fmamk_f16 v78, v74, 0x3b9c, v81
	v_fmac_f16_e32 v81, 0xbb9c, v74
	v_fmac_f16_e32 v66, 0x3b9c, v4
	v_sub_f16_e32 v67, v67, v79
	v_add_f16_e32 v34, v89, v34
	v_add_f16_e32 v59, v59, v61
	v_fmamk_f16 v62, v3, 0xbb9c, v83
	v_fmac_f16_e32 v83, 0x3b9c, v3
	v_add_f16_e32 v5, v5, v32
	v_add_f16_e32 v30, v30, v79
	v_fmac_f16_e32 v69, 0xb8b4, v3
	v_fmac_f16_e32 v64, 0x38b4, v3
	v_add_f16_e32 v3, v6, v33
	v_fmac_f16_e32 v71, 0x38b4, v77
	v_fmac_f16_e32 v60, 0xb8b4, v77
	;; [unrolled: 1-line block ×3, first 2 shown]
	v_add_f16_e32 v6, v31, v80
	v_fmac_f16_e32 v75, 0xb8b4, v74
	v_fmac_f16_e32 v72, 0x38b4, v70
	;; [unrolled: 1-line block ×4, first 2 shown]
	v_fmamk_f16 v61, v68, 0xbb9c, v56
	v_fmac_f16_e32 v56, 0x3b9c, v68
	v_fmac_f16_e32 v66, 0x38b4, v74
	v_fmamk_f16 v57, v67, 0x3b9c, v7
	v_fmac_f16_e32 v7, 0xbb9c, v67
	v_fmac_f16_e32 v71, 0x34f2, v34
	;; [unrolled: 1-line block ×4, first 2 shown]
	v_add_f16_e32 v4, v5, v3
	v_sub_f16_e32 v3, v5, v3
	v_add_f16_e32 v5, v30, v6
	v_fmac_f16_e32 v75, 0x34f2, v59
	v_fmac_f16_e32 v72, 0x34f2, v63
	v_sub_f16_e32 v6, v30, v6
	v_fmac_f16_e32 v81, 0x34f2, v73
	v_fmac_f16_e32 v78, 0x34f2, v73
	;; [unrolled: 1-line block ×8, first 2 shown]
	v_mul_f16_e32 v30, 0xb4f2, v2
	v_mul_f16_e32 v31, 0x38b4, v75
	v_pack_b32_f16 v4, v4, v5
	v_mul_f16_e32 v5, 0xb8b4, v71
	v_mul_f16_e32 v34, 0xba79, v60
	v_add_f16_e32 v84, v87, v88
	v_pack_b32_f16 v3, v3, v6
	v_mul_f16_e32 v6, 0x3b9c, v78
	v_mul_f16_e32 v32, 0xbb9c, v72
	;; [unrolled: 1-line block ×3, first 2 shown]
	v_fmac_f16_e32 v83, 0x38b4, v65
	v_fmac_f16_e32 v56, 0x34f2, v58
	;; [unrolled: 1-line block ×3, first 2 shown]
	v_mul_f16_e32 v58, 0xba79, v66
	v_fmac_f16_e32 v57, 0x34f2, v76
	v_fmac_f16_e32 v7, 0x34f2, v76
	;; [unrolled: 1-line block ×14, first 2 shown]
	v_add_f16_e32 v2, v56, v30
	v_sub_f16_e32 v30, v56, v30
	v_add_f16_e32 v56, v57, v31
	v_add_f16_e32 v59, v7, v34
	v_sub_f16_e32 v7, v7, v34
	v_add_f16_e32 v34, v62, v5
	v_sub_f16_e32 v31, v57, v31
	;; [unrolled: 2-line block ×3, first 2 shown]
	v_add_f16_e32 v60, v69, v32
	v_add_f16_e32 v61, v64, v33
	v_sub_f16_e32 v5, v62, v5
	v_add_f16_e32 v62, v83, v58
	v_sub_f16_e32 v32, v69, v32
	v_sub_f16_e32 v33, v64, v33
	;; [unrolled: 1-line block ×3, first 2 shown]
	v_pack_b32_f16 v34, v56, v34
	v_pack_b32_f16 v56, v57, v60
	;; [unrolled: 1-line block ×8, first 2 shown]
	ds_write2_b32 v52, v4, v34 offset1:50
	ds_write2_b32 v52, v56, v2 offset0:100 offset1:150
	ds_write2_b32 v52, v57, v3 offset0:200 offset1:250
	;; [unrolled: 1-line block ×4, first 2 shown]
	s_waitcnt lgkmcnt(0)
	s_barrier
	buffer_gl0_inv
	s_clause 0x1
	global_load_dwordx4 v[4:7], v1, s[10:11] offset:1960
	global_load_dwordx4 v[0:3], v0, s[10:11] offset:1960
	ds_read2_b32 v[30:31], v48 offset0:4 offset1:254
	ds_read2_b32 v[32:33], v49 offset1:250
	ds_read2_b32 v[56:57], v47 offset0:4 offset1:254
	ds_read2_b32 v[58:59], v46 offset1:250
	ds_read2_b32 v[60:61], v45 offset1:250
	v_add_co_u32 v62, vcc_lo, 0x2710, v27
	v_add_co_ci_u32_e32 v63, vcc_lo, 0, v28, vcc_lo
	s_waitcnt lgkmcnt(4)
	v_lshrrev_b32_e32 v64, 16, v31
	s_waitcnt lgkmcnt(3)
	v_lshrrev_b32_e32 v66, 16, v33
	;; [unrolled: 2-line block ×4, first 2 shown]
	v_lshrrev_b32_e32 v34, 16, v30
	v_lshrrev_b32_e32 v65, 16, v32
	;; [unrolled: 1-line block ×4, first 2 shown]
	s_waitcnt lgkmcnt(0)
	v_lshrrev_b32_e32 v71, 16, v61
	v_lshrrev_b32_e32 v72, 16, v60
	s_waitcnt vmcnt(1)
	v_mul_f16_sdwa v73, v34, v4 dst_sel:DWORD dst_unused:UNUSED_PAD src0_sel:DWORD src1_sel:WORD_1
	s_waitcnt vmcnt(0)
	v_mul_f16_sdwa v76, v31, v0 dst_sel:DWORD dst_unused:UNUSED_PAD src0_sel:DWORD src1_sel:WORD_1
	v_mul_f16_sdwa v80, v33, v1 dst_sel:DWORD dst_unused:UNUSED_PAD src0_sel:DWORD src1_sel:WORD_1
	;; [unrolled: 1-line block ×15, first 2 shown]
	v_fmac_f16_e32 v76, v64, v0
	v_fmac_f16_e32 v80, v66, v1
	;; [unrolled: 1-line block ×4, first 2 shown]
	v_fma_f16 v31, v31, v0, -v74
	v_fma_f16 v33, v33, v1, -v78
	;; [unrolled: 1-line block ×8, first 2 shown]
	v_fmac_f16_e32 v75, v34, v4
	v_fmac_f16_e32 v79, v65, v5
	;; [unrolled: 1-line block ×4, first 2 shown]
	v_add_f16_e32 v68, v80, v84
	v_add_f16_e32 v69, v76, v88
	v_sub_f16_e32 v73, v80, v76
	v_sub_f16_e32 v74, v84, v88
	v_add_f16_e32 v34, v33, v57
	v_add_f16_e32 v64, v31, v59
	v_sub_f16_e32 v66, v33, v31
	v_sub_f16_e32 v67, v57, v59
	v_add_f16_e32 v70, v71, v76
	v_sub_f16_e32 v85, v30, v32
	v_sub_f16_e32 v86, v58, v56
	v_fma_f16 v68, -0.5, v68, v71
	v_fmac_f16_e32 v71, -0.5, v69
	v_add_f16_e32 v69, v79, v83
	v_add_f16_e32 v73, v73, v74
	;; [unrolled: 1-line block ×4, first 2 shown]
	v_sub_f16_e32 v89, v32, v30
	v_sub_f16_e32 v90, v56, v58
	v_fma_f16 v34, -0.5, v34, v61
	v_fmac_f16_e32 v61, -0.5, v64
	v_sub_f16_e32 v64, v75, v79
	v_add_f16_e32 v66, v66, v67
	v_sub_f16_e32 v67, v87, v83
	v_sub_f16_e32 v82, v31, v59
	v_add_f16_e32 v85, v85, v86
	v_add_f16_e32 v86, v72, v75
	v_sub_f16_e32 v31, v31, v33
	v_fma_f16 v69, -0.5, v69, v72
	v_fmac_f16_e32 v72, -0.5, v74
	v_sub_f16_e32 v74, v59, v57
	v_add_f16_e32 v89, v89, v90
	v_sub_f16_e32 v90, v79, v75
	v_add_f16_e32 v64, v64, v67
	v_sub_f16_e32 v67, v83, v87
	v_sub_f16_e32 v78, v33, v57
	;; [unrolled: 1-line block ×4, first 2 shown]
	v_add_f16_e32 v33, v65, v33
	v_sub_f16_e32 v65, v88, v84
	v_add_f16_e32 v31, v31, v74
	v_add_f16_e32 v74, v60, v30
	v_sub_f16_e32 v77, v80, v84
	v_add_f16_e32 v67, v90, v67
	v_add_f16_e32 v90, v32, v56
	;; [unrolled: 1-line block ×5, first 2 shown]
	v_sub_f16_e32 v76, v32, v56
	v_add_f16_e32 v32, v74, v32
	v_sub_f16_e32 v74, v79, v83
	v_sub_f16_e32 v75, v75, v87
	v_fma_f16 v90, -0.5, v90, v60
	v_fma_f16 v60, -0.5, v80, v60
	v_add_f16_e32 v79, v86, v79
	v_sub_f16_e32 v30, v30, v58
	v_add_f16_e32 v32, v32, v56
	v_add_f16_e32 v33, v33, v57
	;; [unrolled: 1-line block ×4, first 2 shown]
	v_fmamk_f16 v70, v75, 0x3b9c, v90
	v_fmac_f16_e32 v90, 0xbb9c, v75
	v_fmamk_f16 v83, v74, 0xbb9c, v60
	v_fmac_f16_e32 v60, 0x3b9c, v74
	v_fmamk_f16 v84, v30, 0xbb9c, v69
	v_add_f16_e32 v32, v32, v58
	v_fmamk_f16 v58, v76, 0x3b9c, v72
	v_fmac_f16_e32 v72, 0xbb9c, v76
	v_fmac_f16_e32 v69, 0x3b9c, v30
	v_fmamk_f16 v80, v77, 0xbb9c, v61
	v_fmamk_f16 v56, v78, 0x3b9c, v71
	v_fmac_f16_e32 v70, 0x38b4, v74
	v_fmac_f16_e32 v90, 0xb8b4, v74
	v_fmamk_f16 v74, v81, 0x3b9c, v34
	v_fmac_f16_e32 v34, 0xbb9c, v81
	v_fmac_f16_e32 v83, 0x38b4, v75
	;; [unrolled: 1-line block ×3, first 2 shown]
	v_fmamk_f16 v75, v82, 0xbb9c, v68
	v_fmac_f16_e32 v68, 0x3b9c, v82
	v_fmac_f16_e32 v61, 0x3b9c, v77
	;; [unrolled: 1-line block ×13, first 2 shown]
	v_add_f16_e32 v30, v33, v59
	v_fmac_f16_e32 v74, 0x38b4, v77
	v_add_f16_e32 v33, v57, v88
	v_fmac_f16_e32 v75, 0xb8b4, v78
	v_fmac_f16_e32 v70, 0x34f2, v85
	;; [unrolled: 1-line block ×9, first 2 shown]
	v_add_f16_e32 v79, v79, v87
	v_fmac_f16_e32 v34, 0x34f2, v31
	v_fmac_f16_e32 v80, 0x34f2, v66
	;; [unrolled: 1-line block ×8, first 2 shown]
	v_pack_b32_f16 v30, v30, v33
	v_pack_b32_f16 v33, v70, v84
	;; [unrolled: 1-line block ×10, first 2 shown]
	ds_write_b32 v45, v33 offset:2000
	ds_write_b32 v45, v57 offset:4000
	;; [unrolled: 1-line block ×4, first 2 shown]
	ds_write2_b32 v45, v31, v30 offset1:250
	ds_write_b32 v45, v60 offset:3000
	ds_write_b32 v45, v56 offset:5000
	;; [unrolled: 1-line block ×4, first 2 shown]
	s_waitcnt lgkmcnt(0)
	s_barrier
	buffer_gl0_inv
	s_clause 0x1
	global_load_dword v34, v[25:26], off offset:1808
	global_load_dword v56, v[62:63], off offset:1000
	v_add_co_u32 v25, vcc_lo, 0x3000, v27
	v_add_co_ci_u32_e32 v26, vcc_lo, 0, v28, vcc_lo
	v_add_co_u32 v30, vcc_lo, 0x3800, v27
	v_add_co_ci_u32_e32 v31, vcc_lo, 0, v28, vcc_lo
	;; [unrolled: 2-line block ×3, first 2 shown]
	s_clause 0x3
	global_load_dword v57, v[62:63], off offset:2000
	global_load_dword v58, v[25:26], off offset:712
	;; [unrolled: 1-line block ×4, first 2 shown]
	v_add_co_u32 v25, vcc_lo, 0x4800, v27
	v_add_co_ci_u32_e32 v26, vcc_lo, 0, v28, vcc_lo
	s_clause 0x3
	global_load_dword v61, v[30:31], off offset:1664
	global_load_dword v62, v[32:33], off offset:616
	;; [unrolled: 1-line block ×4, first 2 shown]
	ds_read2_b32 v[25:26], v45 offset1:250
	s_waitcnt lgkmcnt(0)
	v_lshrrev_b32_e32 v27, 16, v25
	v_lshrrev_b32_e32 v28, 16, v26
	s_waitcnt vmcnt(9)
	v_mul_f16_sdwa v30, v25, v34 dst_sel:DWORD dst_unused:UNUSED_PAD src0_sel:DWORD src1_sel:WORD_1
	v_mul_f16_sdwa v31, v27, v34 dst_sel:DWORD dst_unused:UNUSED_PAD src0_sel:DWORD src1_sel:WORD_1
	s_waitcnt vmcnt(8)
	v_mul_f16_sdwa v32, v28, v56 dst_sel:DWORD dst_unused:UNUSED_PAD src0_sel:DWORD src1_sel:WORD_1
	v_mul_f16_sdwa v33, v26, v56 dst_sel:DWORD dst_unused:UNUSED_PAD src0_sel:DWORD src1_sel:WORD_1
	v_fmac_f16_e32 v30, v27, v34
	v_fma_f16 v25, v25, v34, -v31
	v_fma_f16 v26, v26, v56, -v32
	v_fmac_f16_e32 v33, v28, v56
	v_pack_b32_f16 v25, v25, v30
	v_pack_b32_f16 v26, v26, v33
	ds_write2_b32 v45, v25, v26 offset1:250
	ds_read2_b32 v[25:26], v48 offset0:4 offset1:254
	ds_read2_b32 v[27:28], v49 offset1:250
	ds_read2_b32 v[30:31], v47 offset0:4 offset1:254
	ds_read2_b32 v[32:33], v46 offset1:250
	s_waitcnt lgkmcnt(3)
	v_lshrrev_b32_e32 v34, 16, v25
	v_lshrrev_b32_e32 v56, 16, v26
	s_waitcnt vmcnt(7)
	v_mul_f16_sdwa v65, v25, v57 dst_sel:DWORD dst_unused:UNUSED_PAD src0_sel:DWORD src1_sel:WORD_1
	s_waitcnt vmcnt(6)
	v_mul_f16_sdwa v66, v26, v58 dst_sel:DWORD dst_unused:UNUSED_PAD src0_sel:DWORD src1_sel:WORD_1
	s_waitcnt lgkmcnt(2)
	v_lshrrev_b32_e32 v67, 16, v27
	v_lshrrev_b32_e32 v68, 16, v28
	s_waitcnt vmcnt(5)
	v_mul_f16_sdwa v69, v27, v59 dst_sel:DWORD dst_unused:UNUSED_PAD src0_sel:DWORD src1_sel:WORD_1
	s_waitcnt vmcnt(4)
	v_mul_f16_sdwa v70, v28, v60 dst_sel:DWORD dst_unused:UNUSED_PAD src0_sel:DWORD src1_sel:WORD_1
	;; [unrolled: 7-line block ×3, first 2 shown]
	s_waitcnt lgkmcnt(0)
	v_lshrrev_b32_e32 v75, 16, v32
	v_lshrrev_b32_e32 v77, 16, v33
	v_mul_f16_sdwa v79, v34, v57 dst_sel:DWORD dst_unused:UNUSED_PAD src0_sel:DWORD src1_sel:WORD_1
	v_mul_f16_sdwa v80, v56, v58 dst_sel:DWORD dst_unused:UNUSED_PAD src0_sel:DWORD src1_sel:WORD_1
	v_fmac_f16_e32 v65, v34, v57
	v_fmac_f16_e32 v66, v56, v58
	v_mul_f16_sdwa v34, v67, v59 dst_sel:DWORD dst_unused:UNUSED_PAD src0_sel:DWORD src1_sel:WORD_1
	v_mul_f16_sdwa v56, v68, v60 dst_sel:DWORD dst_unused:UNUSED_PAD src0_sel:DWORD src1_sel:WORD_1
	v_fmac_f16_e32 v69, v67, v59
	v_fmac_f16_e32 v70, v68, v60
	v_mul_f16_sdwa v67, v71, v61 dst_sel:DWORD dst_unused:UNUSED_PAD src0_sel:DWORD src1_sel:WORD_1
	v_mul_f16_sdwa v68, v72, v62 dst_sel:DWORD dst_unused:UNUSED_PAD src0_sel:DWORD src1_sel:WORD_1
	s_waitcnt vmcnt(1)
	v_mul_f16_sdwa v76, v32, v63 dst_sel:DWORD dst_unused:UNUSED_PAD src0_sel:DWORD src1_sel:WORD_1
	s_waitcnt vmcnt(0)
	v_mul_f16_sdwa v78, v33, v64 dst_sel:DWORD dst_unused:UNUSED_PAD src0_sel:DWORD src1_sel:WORD_1
	v_fmac_f16_e32 v73, v71, v61
	v_fmac_f16_e32 v74, v72, v62
	v_mul_f16_sdwa v71, v75, v63 dst_sel:DWORD dst_unused:UNUSED_PAD src0_sel:DWORD src1_sel:WORD_1
	v_mul_f16_sdwa v72, v77, v64 dst_sel:DWORD dst_unused:UNUSED_PAD src0_sel:DWORD src1_sel:WORD_1
	v_fma_f16 v25, v25, v57, -v79
	v_fma_f16 v26, v26, v58, -v80
	;; [unrolled: 1-line block ×6, first 2 shown]
	v_fmac_f16_e32 v76, v75, v63
	v_fmac_f16_e32 v78, v77, v64
	v_fma_f16 v32, v32, v63, -v71
	v_fma_f16 v33, v33, v64, -v72
	v_pack_b32_f16 v25, v25, v65
	v_pack_b32_f16 v26, v26, v66
	;; [unrolled: 1-line block ×8, first 2 shown]
	ds_write2_b32 v48, v25, v26 offset0:4 offset1:254
	ds_write2_b32 v49, v27, v28 offset1:250
	ds_write2_b32 v47, v30, v31 offset0:4 offset1:254
	ds_write2_b32 v46, v32, v33 offset1:250
	s_waitcnt lgkmcnt(0)
	s_barrier
	buffer_gl0_inv
	ds_read2_b32 v[25:26], v45 offset1:250
	ds_read2_b32 v[27:28], v48 offset0:4 offset1:254
	ds_read2_b32 v[30:31], v49 offset1:250
	ds_read2_b32 v[32:33], v47 offset0:4 offset1:254
	ds_read2_b32 v[56:57], v46 offset1:250
	s_waitcnt lgkmcnt(0)
	s_barrier
	buffer_gl0_inv
	v_lshrrev_b32_e32 v89, 16, v25
	v_pk_add_f16 v34, v25, v27
	v_pk_add_f16 v58, v26, v28
	v_add_f16_e32 v59, v30, v32
	v_sub_f16_e32 v61, v27, v30
	v_sub_f16_e32 v62, v30, v27
	v_add_f16_sdwa v63, v30, v32 dst_sel:DWORD dst_unused:UNUSED_PAD src0_sel:WORD_1 src1_sel:WORD_1
	v_sub_f16_sdwa v65, v27, v30 dst_sel:DWORD dst_unused:UNUSED_PAD src0_sel:WORD_1 src1_sel:WORD_1
	v_sub_f16_sdwa v66, v30, v27 dst_sel:DWORD dst_unused:UNUSED_PAD src0_sel:WORD_1 src1_sel:WORD_1
	v_add_f16_e32 v67, v31, v33
	v_sub_f16_e32 v69, v28, v31
	v_sub_f16_e32 v70, v31, v28
	v_add_f16_sdwa v71, v31, v33 dst_sel:DWORD dst_unused:UNUSED_PAD src0_sel:WORD_1 src1_sel:WORD_1
	v_sub_f16_sdwa v73, v28, v31 dst_sel:DWORD dst_unused:UNUSED_PAD src0_sel:WORD_1 src1_sel:WORD_1
	v_sub_f16_sdwa v74, v31, v28 dst_sel:DWORD dst_unused:UNUSED_PAD src0_sel:WORD_1 src1_sel:WORD_1
	;; [unrolled: 1-line block ×3, first 2 shown]
	v_add_f16_e32 v76, v27, v56
	v_sub_f16_e32 v77, v27, v56
	v_add_f16_sdwa v27, v27, v56 dst_sel:DWORD dst_unused:UNUSED_PAD src0_sel:WORD_1 src1_sel:WORD_1
	v_sub_f16_sdwa v78, v28, v57 dst_sel:DWORD dst_unused:UNUSED_PAD src0_sel:WORD_1 src1_sel:WORD_1
	v_add_f16_e32 v79, v28, v57
	v_sub_f16_e32 v80, v28, v57
	v_add_f16_sdwa v28, v28, v57 dst_sel:DWORD dst_unused:UNUSED_PAD src0_sel:WORD_1 src1_sel:WORD_1
	v_sub_f16_e32 v82, v32, v56
	v_sub_f16_sdwa v84, v32, v56 dst_sel:DWORD dst_unused:UNUSED_PAD src0_sel:WORD_1 src1_sel:WORD_1
	v_lshrrev_b32_e32 v90, 16, v26
	v_sub_f16_sdwa v60, v30, v32 dst_sel:DWORD dst_unused:UNUSED_PAD src0_sel:WORD_1 src1_sel:WORD_1
	v_sub_f16_e32 v64, v30, v32
	v_sub_f16_sdwa v68, v31, v33 dst_sel:DWORD dst_unused:UNUSED_PAD src0_sel:WORD_1 src1_sel:WORD_1
	v_sub_f16_e32 v72, v31, v33
	v_sub_f16_sdwa v88, v33, v57 dst_sel:DWORD dst_unused:UNUSED_PAD src0_sel:WORD_1 src1_sel:WORD_1
	v_pk_add_f16 v30, v34, v30
	v_pk_add_f16 v31, v58, v31
	v_fma_f16 v34, -0.5, v59, v25
	v_fma_f16 v58, -0.5, v76, v25
	v_fma_f16 v59, -0.5, v67, v26
	v_add_f16_e32 v25, v62, v82
	v_fma_f16 v62, -0.5, v63, v89
	v_fmac_f16_e32 v89, -0.5, v27
	v_add_f16_e32 v27, v66, v84
	v_fma_f16 v66, -0.5, v71, v90
	v_fmac_f16_e32 v90, -0.5, v28
	v_sub_f16_e32 v85, v57, v33
	v_sub_f16_e32 v86, v33, v57
	v_sub_f16_sdwa v87, v57, v33 dst_sel:DWORD dst_unused:UNUSED_PAD src0_sel:WORD_1 src1_sel:WORD_1
	v_fma_f16 v26, -0.5, v79, v26
	v_add_f16_e32 v28, v74, v88
	v_fmamk_f16 v74, v78, 0xbb9c, v59
	v_fmamk_f16 v76, v72, 0xbb9c, v90
	v_fmac_f16_e32 v90, 0x3b9c, v72
	v_fmamk_f16 v79, v80, 0x3b9c, v66
	v_fmac_f16_e32 v66, 0xbb9c, v80
	v_sub_f16_e32 v81, v56, v32
	v_sub_f16_sdwa v83, v56, v32 dst_sel:DWORD dst_unused:UNUSED_PAD src0_sel:WORD_1 src1_sel:WORD_1
	v_add_f16_e32 v63, v70, v86
	v_add_f16_e32 v67, v69, v85
	;; [unrolled: 1-line block ×3, first 2 shown]
	v_pk_add_f16 v30, v30, v32
	v_pk_add_f16 v31, v31, v33
	v_fmamk_f16 v32, v60, 0x3b9c, v58
	v_fmac_f16_e32 v58, 0xbb9c, v60
	v_fmamk_f16 v70, v64, 0xbb9c, v89
	v_fmac_f16_e32 v89, 0x3b9c, v64
	;; [unrolled: 2-line block ×3, first 2 shown]
	v_fmac_f16_e32 v90, 0xb8b4, v80
	v_fmac_f16_e32 v76, 0x38b4, v80
	v_fmac_f16_e32 v79, 0x38b4, v72
	v_fmac_f16_e32 v74, 0xb8b4, v68
	v_fmamk_f16 v33, v75, 0xbb9c, v34
	v_fmac_f16_e32 v34, 0x3b9c, v75
	v_fmac_f16_e32 v59, 0x3b9c, v78
	;; [unrolled: 1-line block ×3, first 2 shown]
	v_fmamk_f16 v71, v77, 0x3b9c, v62
	v_pk_add_f16 v30, v30, v56
	v_pk_add_f16 v31, v31, v57
	v_fmac_f16_e32 v32, 0xb8b4, v75
	v_fmac_f16_e32 v58, 0x38b4, v75
	;; [unrolled: 1-line block ×10, first 2 shown]
	v_add_f16_e32 v61, v61, v81
	v_fmac_f16_e32 v62, 0xbb9c, v77
	v_fmac_f16_e32 v33, 0xb8b4, v60
	;; [unrolled: 1-line block ×5, first 2 shown]
	v_add_f16_e32 v65, v65, v83
	v_fmac_f16_e32 v71, 0x38b4, v64
	v_fmac_f16_e32 v32, 0x34f2, v25
	;; [unrolled: 1-line block ×7, first 2 shown]
	v_pk_add_f16 v25, v30, v31
	v_pk_add_f16 v28, v30, v31 neg_lo:[0,1] neg_hi:[0,1]
	v_mul_f16_e32 v27, 0xbb9c, v90
	v_mul_f16_e32 v30, 0xb4f2, v90
	;; [unrolled: 1-line block ×6, first 2 shown]
	v_fmac_f16_e32 v62, 0xb8b4, v64
	v_fmac_f16_e32 v33, 0x34f2, v61
	;; [unrolled: 1-line block ×4, first 2 shown]
	v_mul_f16_e32 v61, 0xb8b4, v66
	v_mul_f16_e32 v63, 0xba79, v66
	v_fmac_f16_e32 v71, 0x34f2, v65
	v_fmac_f16_e32 v27, 0xb4f2, v26
	;; [unrolled: 1-line block ×10, first 2 shown]
	v_add_f16_e32 v26, v58, v27
	v_add_f16_e32 v59, v89, v30
	;; [unrolled: 1-line block ×4, first 2 shown]
	v_sub_f16_e32 v66, v33, v57
	v_add_f16_e32 v57, v33, v57
	v_sub_f16_e32 v67, v71, v60
	v_add_f16_e32 v60, v71, v60
	v_sub_f16_e32 v32, v32, v31
	v_sub_f16_e32 v56, v70, v56
	v_add_f16_e32 v68, v34, v61
	v_sub_f16_e32 v58, v58, v27
	v_add_f16_e32 v27, v62, v63
	v_sub_f16_e32 v34, v34, v61
	v_sub_f16_e32 v61, v62, v63
	;; [unrolled: 1-line block ×3, first 2 shown]
	v_pack_b32_f16 v31, v26, v59
	v_pack_b32_f16 v30, v64, v65
	;; [unrolled: 1-line block ×8, first 2 shown]
	ds_write2_b64 v29, v[25:26], v[30:31] offset1:1
	ds_write2_b64 v29, v[27:28], v[32:33] offset0:2 offset1:3
	ds_write_b64 v29, v[56:57] offset:32
	s_waitcnt lgkmcnt(0)
	s_barrier
	buffer_gl0_inv
	ds_read2_b32 v[27:28], v48 offset0:4 offset1:254
	ds_read2_b32 v[29:30], v49 offset1:250
	ds_read2_b32 v[31:32], v47 offset0:4 offset1:254
	ds_read2_b32 v[33:34], v46 offset1:250
	ds_read2_b32 v[56:57], v45 offset1:250
	s_waitcnt lgkmcnt(0)
	s_barrier
	buffer_gl0_inv
	v_mad_u64_u32 v[25:26], null, s2, v24, 0
	v_lshrrev_b32_e32 v58, 16, v27
	v_lshrrev_b32_e32 v59, 16, v29
	v_mul_f16_sdwa v60, v20, v27 dst_sel:DWORD dst_unused:UNUSED_PAD src0_sel:WORD_1 src1_sel:DWORD
	v_lshrrev_b32_e32 v61, 16, v31
	v_mul_f16_sdwa v62, v21, v29 dst_sel:DWORD dst_unused:UNUSED_PAD src0_sel:WORD_1 src1_sel:DWORD
	v_mul_f16_sdwa v63, v22, v31 dst_sel:DWORD dst_unused:UNUSED_PAD src0_sel:WORD_1 src1_sel:DWORD
	v_lshrrev_b32_e32 v64, 16, v33
	v_mul_f16_sdwa v65, v23, v33 dst_sel:DWORD dst_unused:UNUSED_PAD src0_sel:WORD_1 src1_sel:DWORD
	v_lshrrev_b32_e32 v66, 16, v28
	;; [unrolled: 2-line block ×6, first 2 shown]
	v_mul_f16_sdwa v76, v20, v58 dst_sel:DWORD dst_unused:UNUSED_PAD src0_sel:WORD_1 src1_sel:DWORD
	v_fma_f16 v58, v20, v58, -v60
	v_mul_f16_sdwa v60, v21, v59 dst_sel:DWORD dst_unused:UNUSED_PAD src0_sel:WORD_1 src1_sel:DWORD
	v_fma_f16 v59, v21, v59, -v62
	v_mul_f16_sdwa v62, v22, v61 dst_sel:DWORD dst_unused:UNUSED_PAD src0_sel:WORD_1 src1_sel:DWORD
	v_fma_f16 v61, v22, v61, -v63
	v_fma_f16 v63, v23, v64, -v65
	v_mul_f16_sdwa v64, v23, v64 dst_sel:DWORD dst_unused:UNUSED_PAD src0_sel:WORD_1 src1_sel:DWORD
	v_mul_f16_sdwa v65, v16, v66 dst_sel:DWORD dst_unused:UNUSED_PAD src0_sel:WORD_1 src1_sel:DWORD
	v_fma_f16 v66, v16, v66, -v67
	v_mul_f16_sdwa v67, v17, v68 dst_sel:DWORD dst_unused:UNUSED_PAD src0_sel:WORD_1 src1_sel:DWORD
	v_fma_f16 v68, v17, v68, -v69
	;; [unrolled: 2-line block ×4, first 2 shown]
	v_lshrrev_b32_e32 v74, 16, v56
	v_fmac_f16_e32 v76, v20, v27
	v_fmac_f16_e32 v60, v21, v29
	;; [unrolled: 1-line block ×8, first 2 shown]
	v_sub_f16_e32 v16, v58, v59
	v_sub_f16_e32 v17, v63, v61
	v_add_f16_e32 v18, v59, v61
	v_add_f16_e32 v19, v58, v63
	v_sub_f16_e32 v21, v59, v58
	v_sub_f16_e32 v22, v61, v63
	;; [unrolled: 1-line block ×4, first 2 shown]
	v_add_f16_e32 v28, v68, v70
	v_add_f16_e32 v29, v66, v72
	v_sub_f16_e32 v30, v68, v66
	v_sub_f16_e32 v31, v70, v72
	v_add_f16_e32 v32, v75, v66
	v_add_f16_e32 v20, v74, v58
	v_sub_f16_e32 v34, v68, v70
	v_add_f16_e32 v16, v16, v17
	v_fma_f16 v17, -0.5, v18, v74
	v_fmac_f16_e32 v74, -0.5, v19
	v_add_f16_e32 v18, v21, v22
	v_add_f16_e32 v19, v23, v27
	v_fma_f16 v21, -0.5, v28, v75
	v_fmac_f16_e32 v75, -0.5, v29
	v_add_f16_e32 v22, v30, v31
	v_sub_f16_e32 v23, v76, v60
	v_sub_f16_e32 v27, v64, v62
	;; [unrolled: 1-line block ×6, first 2 shown]
	v_add_f16_e32 v32, v32, v68
	v_add_f16_e32 v68, v56, v76
	;; [unrolled: 1-line block ×4, first 2 shown]
	v_sub_f16_e32 v82, v76, v64
	v_add_f16_e32 v76, v76, v64
	v_sub_f16_e32 v33, v59, v61
	v_add_f16_e32 v59, v67, v69
	;; [unrolled: 2-line block ×3, first 2 shown]
	v_add_f16_e32 v77, v57, v65
	v_sub_f16_e32 v58, v58, v63
	v_add_f16_e32 v23, v23, v27
	v_add_f16_e32 v27, v28, v29
	v_add_f16_e32 v28, v30, v31
	v_add_f16_e32 v31, v32, v70
	v_add_f16_e32 v32, v68, v60
	v_fma_f16 v70, -0.5, v80, v56
	v_sub_f16_e32 v81, v60, v62
	v_add_f16_e32 v20, v20, v61
	v_fma_f16 v56, -0.5, v76, v56
	v_sub_f16_e32 v66, v66, v72
	v_sub_f16_e32 v78, v67, v65
	;; [unrolled: 1-line block ×3, first 2 shown]
	v_fma_f16 v29, -0.5, v59, v57
	v_fmamk_f16 v68, v83, 0xbb9c, v75
	v_fmac_f16_e32 v75, 0x3b9c, v83
	v_fmac_f16_e32 v57, -0.5, v73
	v_add_f16_e32 v61, v77, v67
	v_fmamk_f16 v59, v82, 0x3b9c, v17
	v_add_f16_e32 v32, v32, v62
	v_fmamk_f16 v62, v58, 0xbb9c, v70
	v_fmamk_f16 v60, v81, 0xbb9c, v74
	v_fmac_f16_e32 v74, 0x3b9c, v81
	v_add_f16_e32 v20, v20, v63
	v_fmamk_f16 v63, v33, 0x3b9c, v56
	v_fmac_f16_e32 v56, 0xbb9c, v33
	v_fmac_f16_e32 v17, 0xbb9c, v82
	;; [unrolled: 1-line block ×3, first 2 shown]
	v_fmamk_f16 v67, v65, 0x3b9c, v21
	v_fmac_f16_e32 v21, 0xbb9c, v65
	v_fmac_f16_e32 v68, 0x38b4, v65
	;; [unrolled: 1-line block ×3, first 2 shown]
	v_fmamk_f16 v65, v66, 0xbb9c, v29
	v_sub_f16_e32 v79, v69, v71
	v_add_f16_e32 v61, v61, v69
	v_fmac_f16_e32 v29, 0x3b9c, v66
	v_fmamk_f16 v69, v34, 0x3b9c, v57
	v_fmac_f16_e32 v57, 0xbb9c, v34
	v_fmac_f16_e32 v59, 0x38b4, v81
	;; [unrolled: 1-line block ×11, first 2 shown]
	v_add_f16_e32 v30, v78, v79
	v_fmac_f16_e32 v21, 0xb8b4, v83
	v_fmac_f16_e32 v29, 0x38b4, v34
	v_fmac_f16_e32 v69, 0xb8b4, v66
	v_fmac_f16_e32 v57, 0x38b4, v66
	v_add_f16_e32 v32, v32, v64
	v_fmac_f16_e32 v59, 0x34f2, v16
	v_fmac_f16_e32 v62, 0x34f2, v23
	;; [unrolled: 1-line block ×8, first 2 shown]
	v_add_f16_e32 v31, v31, v72
	v_add_f16_e32 v16, v61, v71
	v_fmac_f16_e32 v67, 0x34f2, v19
	v_fmac_f16_e32 v65, 0x34f2, v28
	;; [unrolled: 1-line block ×8, first 2 shown]
	v_pack_b32_f16 v18, v32, v20
	v_pack_b32_f16 v19, v62, v59
	;; [unrolled: 1-line block ×10, first 2 shown]
	ds_write2_b32 v54, v18, v19 offset1:10
	ds_write2_b32 v54, v20, v22 offset0:20 offset1:30
	ds_write_b32 v54, v17 offset:160
	ds_write2_b32 v55, v16, v23 offset1:10
	ds_write2_b32 v55, v27, v28 offset0:20 offset1:30
	ds_write_b32 v55, v21 offset:160
	s_waitcnt lgkmcnt(0)
	s_barrier
	buffer_gl0_inv
	ds_read2_b32 v[16:17], v45 offset1:250
	ds_read2_b32 v[29:30], v48 offset0:4 offset1:254
	ds_read2_b32 v[27:28], v49 offset1:250
	ds_read2_b32 v[21:22], v47 offset0:4 offset1:254
	v_mov_b32_e32 v20, v26
	v_mad_u64_u32 v[18:19], null, s0, v50, 0
	s_waitcnt lgkmcnt(3)
	v_mul_f16_sdwa v59, v8, v17 dst_sel:DWORD dst_unused:UNUSED_PAD src0_sel:WORD_1 src1_sel:DWORD
	s_waitcnt lgkmcnt(2)
	v_lshrrev_b32_e32 v33, 16, v30
	s_waitcnt lgkmcnt(0)
	v_mad_u64_u32 v[31:32], null, s3, v24, v[20:21]
	ds_read2_b32 v[23:24], v46 offset1:250
	v_mad_u64_u32 v[19:20], null, s1, v50, v[19:20]
	v_lshrrev_b32_e32 v32, 16, v29
	v_lshrrev_b32_e32 v34, 16, v27
	;; [unrolled: 1-line block ×3, first 2 shown]
	v_mov_b32_e32 v26, v31
	v_lshrrev_b32_e32 v31, 16, v17
	v_lshrrev_b32_e32 v54, 16, v21
	;; [unrolled: 1-line block ×3, first 2 shown]
	v_mul_f16_sdwa v56, v9, v29 dst_sel:DWORD dst_unused:UNUSED_PAD src0_sel:WORD_1 src1_sel:DWORD
	v_mul_f16_sdwa v58, v10, v30 dst_sel:DWORD dst_unused:UNUSED_PAD src0_sel:WORD_1 src1_sel:DWORD
	;; [unrolled: 1-line block ×6, first 2 shown]
	v_lshrrev_b32_e32 v20, 16, v16
	v_mul_f16_sdwa v67, v9, v32 dst_sel:DWORD dst_unused:UNUSED_PAD src0_sel:WORD_1 src1_sel:DWORD
	v_fma_f16 v32, v9, v32, -v56
	v_mul_f16_sdwa v56, v10, v33 dst_sel:DWORD dst_unused:UNUSED_PAD src0_sel:WORD_1 src1_sel:DWORD
	s_waitcnt lgkmcnt(0)
	v_lshrrev_b32_e32 v57, 16, v23
	v_lshrrev_b32_e32 v61, 16, v24
	v_mul_f16_sdwa v65, v15, v23 dst_sel:DWORD dst_unused:UNUSED_PAD src0_sel:WORD_1 src1_sel:DWORD
	v_mul_f16_sdwa v66, v51, v24 dst_sel:DWORD dst_unused:UNUSED_PAD src0_sel:WORD_1 src1_sel:DWORD
	v_fma_f16 v33, v10, v33, -v58
	v_fma_f16 v58, v8, v31, -v59
	v_mul_f16_sdwa v31, v8, v31 dst_sel:DWORD dst_unused:UNUSED_PAD src0_sel:WORD_1 src1_sel:DWORD
	v_mul_f16_sdwa v59, v11, v34 dst_sel:DWORD dst_unused:UNUSED_PAD src0_sel:WORD_1 src1_sel:DWORD
	v_fma_f16 v34, v11, v34, -v60
	v_fma_f16 v60, v12, v50, -v62
	v_mul_f16_sdwa v50, v12, v50 dst_sel:DWORD dst_unused:UNUSED_PAD src0_sel:WORD_1 src1_sel:DWORD
	v_fma_f16 v62, v13, v54, -v63
	v_mul_f16_sdwa v54, v13, v54 dst_sel:DWORD dst_unused:UNUSED_PAD src0_sel:WORD_1 src1_sel:DWORD
	;; [unrolled: 2-line block ×5, first 2 shown]
	v_fmac_f16_e32 v67, v9, v29
	v_fmac_f16_e32 v56, v10, v30
	;; [unrolled: 1-line block ×9, first 2 shown]
	v_add_f16_e32 v8, v20, v32
	v_add_f16_e32 v9, v34, v62
	v_sub_f16_e32 v10, v32, v34
	v_sub_f16_e32 v11, v64, v62
	v_add_f16_e32 v12, v32, v64
	v_sub_f16_e32 v13, v34, v32
	v_sub_f16_e32 v14, v62, v64
	v_add_f16_e32 v15, v58, v33
	v_add_f16_e32 v17, v60, v63
	v_sub_f16_e32 v21, v33, v60
	v_sub_f16_e32 v22, v65, v63
	v_add_f16_e32 v23, v33, v65
	v_sub_f16_e32 v24, v60, v33
	v_sub_f16_e32 v27, v63, v65
	;; [unrolled: 1-line block ×6, first 2 shown]
	v_add_f16_e32 v10, v10, v11
	v_fma_f16 v9, -0.5, v9, v20
	v_fmac_f16_e32 v20, -0.5, v12
	v_add_f16_e32 v11, v13, v14
	v_add_f16_e32 v12, v21, v22
	v_sub_f16_e32 v13, v67, v59
	v_fma_f16 v14, -0.5, v17, v58
	v_fmac_f16_e32 v58, -0.5, v23
	v_sub_f16_e32 v17, v57, v54
	v_add_f16_e32 v21, v24, v27
	v_add_f16_e32 v22, v59, v54
	;; [unrolled: 1-line block ×3, first 2 shown]
	v_sub_f16_e32 v27, v59, v67
	v_sub_f16_e32 v33, v54, v57
	v_add_f16_e32 v8, v8, v34
	v_sub_f16_e32 v34, v56, v50
	v_add_f16_e32 v15, v15, v60
	v_add_f16_e32 v60, v50, v55
	;; [unrolled: 1-line block ×4, first 2 shown]
	v_sub_f16_e32 v69, v50, v56
	v_sub_f16_e32 v72, v50, v55
	;; [unrolled: 1-line block ×3, first 2 shown]
	v_add_f16_e32 v23, v67, v57
	v_sub_f16_e32 v51, v61, v55
	v_sub_f16_e32 v71, v59, v54
	v_sub_f16_e32 v67, v67, v57
	v_add_f16_e32 v13, v13, v17
	v_fma_f16 v17, -0.5, v22, v16
	v_add_f16_e32 v22, v27, v33
	v_fma_f16 v27, -0.5, v60, v31
	v_add_f16_e32 v24, v24, v59
	v_fmamk_f16 v59, v56, 0x3b9c, v14
	v_fmamk_f16 v60, v72, 0xbb9c, v58
	v_fmac_f16_e32 v58, 0x3b9c, v72
	v_fmac_f16_e32 v31, -0.5, v66
	v_fmac_f16_e32 v16, -0.5, v23
	v_add_f16_e32 v50, v68, v50
	v_fmac_f16_e32 v14, 0xbb9c, v56
	v_add_f16_e32 v23, v34, v51
	v_fmamk_f16 v34, v67, 0x3b9c, v9
	v_fmac_f16_e32 v9, 0xbb9c, v67
	v_add_f16_e32 v24, v24, v54
	v_fmac_f16_e32 v59, 0x38b4, v72
	v_fmac_f16_e32 v60, 0x38b4, v56
	;; [unrolled: 1-line block ×3, first 2 shown]
	v_fmamk_f16 v54, v30, 0xbb9c, v17
	v_fmac_f16_e32 v17, 0x3b9c, v30
	v_fmamk_f16 v56, v32, 0xbb9c, v27
	v_fmac_f16_e32 v27, 0x3b9c, v32
	v_sub_f16_e32 v70, v55, v61
	v_add_f16_e32 v8, v8, v62
	v_add_f16_e32 v15, v15, v63
	v_fmamk_f16 v51, v71, 0xbb9c, v20
	v_fmac_f16_e32 v20, 0x3b9c, v71
	v_fmamk_f16 v62, v29, 0x3b9c, v31
	v_fmac_f16_e32 v31, 0xbb9c, v29
	v_add_f16_e32 v50, v50, v55
	v_fmac_f16_e32 v14, 0xb8b4, v72
	v_fmamk_f16 v55, v28, 0x3b9c, v16
	v_fmac_f16_e32 v16, 0xbb9c, v28
	v_fmac_f16_e32 v34, 0x38b4, v71
	;; [unrolled: 1-line block ×8, first 2 shown]
	v_add_f16_e32 v33, v69, v70
	v_add_f16_e32 v8, v8, v64
	v_fmac_f16_e32 v51, 0x38b4, v67
	v_fmac_f16_e32 v20, 0xb8b4, v67
	v_add_f16_e32 v15, v15, v65
	v_fmac_f16_e32 v62, 0xb8b4, v32
	v_fmac_f16_e32 v31, 0x38b4, v32
	v_fmac_f16_e32 v60, 0x34f2, v21
	v_fmac_f16_e32 v58, 0x34f2, v21
	v_fmac_f16_e32 v55, 0xb8b4, v30
	v_fmac_f16_e32 v16, 0x38b4, v30
	v_fmac_f16_e32 v14, 0x34f2, v12
	v_add_f16_e32 v24, v24, v57
	v_fmac_f16_e32 v34, 0x34f2, v10
	v_fmac_f16_e32 v9, 0x34f2, v10
	v_add_f16_e32 v10, v50, v61
	v_fmac_f16_e32 v54, 0x34f2, v13
	v_fmac_f16_e32 v17, 0x34f2, v13
	;; [unrolled: 1-line block ×4, first 2 shown]
	v_mul_f16_e32 v13, 0xb8b4, v59
	v_mul_f16_e32 v23, 0x3a79, v59
	v_fmac_f16_e32 v51, 0x34f2, v11
	v_fmac_f16_e32 v20, 0x34f2, v11
	v_add_f16_e32 v11, v8, v15
	v_sub_f16_e32 v8, v8, v15
	v_fmac_f16_e32 v62, 0x34f2, v33
	v_fmac_f16_e32 v31, 0x34f2, v33
	v_mul_f16_e32 v15, 0xbb9c, v60
	v_mul_f16_e32 v21, 0xbb9c, v58
	;; [unrolled: 1-line block ×4, first 2 shown]
	v_fmac_f16_e32 v55, 0x34f2, v22
	v_fmac_f16_e32 v16, 0x34f2, v22
	v_mul_f16_e32 v22, 0xb8b4, v14
	v_mul_f16_e32 v14, 0xba79, v14
	v_add_f16_e32 v12, v24, v10
	v_sub_f16_e32 v10, v24, v10
	v_fmac_f16_e32 v13, 0x3a79, v56
	v_fmac_f16_e32 v23, 0x38b4, v56
	;; [unrolled: 1-line block ×8, first 2 shown]
	v_pack_b32_f16 v8, v10, v8
	v_add_f16_e32 v10, v54, v13
	v_add_f16_e32 v30, v34, v23
	v_pack_b32_f16 v11, v12, v11
	v_add_f16_e32 v12, v55, v15
	v_add_f16_e32 v24, v16, v21
	;; [unrolled: 1-line block ×6, first 2 shown]
	s_load_dwordx2 s[2:3], s[4:5], 0x38
	v_sub_f16_e32 v13, v54, v13
	v_sub_f16_e32 v15, v55, v15
	;; [unrolled: 1-line block ×8, first 2 shown]
	v_pack_b32_f16 v10, v10, v30
	v_pack_b32_f16 v12, v12, v31
	;; [unrolled: 1-line block ×8, first 2 shown]
	s_waitcnt lgkmcnt(0)
	s_barrier
	buffer_gl0_inv
	ds_write2_b32 v52, v11, v10 offset1:50
	ds_write2_b32 v52, v12, v14 offset0:100 offset1:150
	ds_write2_b32 v52, v23, v8 offset0:200 offset1:250
	;; [unrolled: 1-line block ×4, first 2 shown]
	s_waitcnt lgkmcnt(0)
	s_barrier
	buffer_gl0_inv
	ds_read2_b32 v[10:11], v45 offset1:250
	ds_read2_b32 v[12:13], v48 offset0:4 offset1:254
	ds_read2_b32 v[14:15], v49 offset1:250
	ds_read2_b32 v[16:17], v47 offset0:4 offset1:254
	ds_read2_b32 v[20:21], v46 offset1:250
	v_lshlrev_b64 v[8:9], 2, v[25:26]
	v_lshlrev_b64 v[18:19], 2, v[18:19]
	s_mulk_i32 s1, 0x3e8
	s_add_i32 s28, s28, s1
	v_add_co_u32 v8, vcc_lo, s2, v8
	v_add_co_ci_u32_e32 v9, vcc_lo, s3, v9, vcc_lo
	v_add_co_u32 v8, vcc_lo, v8, v18
	v_add_co_ci_u32_e32 v9, vcc_lo, v9, v19, vcc_lo
	s_waitcnt lgkmcnt(4)
	v_lshrrev_b32_e32 v18, 16, v10
	s_waitcnt lgkmcnt(3)
	v_lshrrev_b32_e32 v19, 16, v12
	;; [unrolled: 2-line block ×5, first 2 shown]
	v_lshrrev_b32_e32 v26, 16, v13
	v_lshrrev_b32_e32 v27, 16, v15
	;; [unrolled: 1-line block ×4, first 2 shown]
	v_mul_f16_sdwa v30, v4, v12 dst_sel:DWORD dst_unused:UNUSED_PAD src0_sel:WORD_1 src1_sel:DWORD
	v_mul_f16_sdwa v31, v5, v14 dst_sel:DWORD dst_unused:UNUSED_PAD src0_sel:WORD_1 src1_sel:DWORD
	;; [unrolled: 1-line block ×9, first 2 shown]
	v_fma_f16 v19, v4, v19, -v30
	v_mul_f16_sdwa v30, v5, v22 dst_sel:DWORD dst_unused:UNUSED_PAD src0_sel:WORD_1 src1_sel:DWORD
	v_fma_f16 v22, v5, v22, -v31
	v_mul_f16_sdwa v31, v6, v23 dst_sel:DWORD dst_unused:UNUSED_PAD src0_sel:WORD_1 src1_sel:DWORD
	;; [unrolled: 2-line block ×7, first 2 shown]
	v_fma_f16 v29, v3, v29, -v52
	v_lshrrev_b32_e32 v25, 16, v11
	v_fmac_f16_e32 v53, v4, v12
	v_fmac_f16_e32 v30, v5, v14
	;; [unrolled: 1-line block ×7, first 2 shown]
	v_sub_f16_e32 v0, v19, v24
	v_add_f16_e32 v2, v18, v19
	v_add_f16_e32 v3, v22, v23
	v_sub_f16_e32 v4, v19, v22
	v_add_f16_e32 v6, v19, v24
	v_sub_f16_e32 v7, v22, v19
	v_sub_f16_e32 v12, v23, v24
	;; [unrolled: 1-line block ×5, first 2 shown]
	v_fmac_f16_e32 v34, v1, v15
	v_add_f16_e32 v15, v25, v26
	v_add_f16_e32 v16, v27, v28
	;; [unrolled: 1-line block ×5, first 2 shown]
	v_fma_f16 v3, -0.5, v3, v18
	v_fmac_f16_e32 v18, -0.5, v6
	v_sub_f16_e32 v6, v30, v53
	v_add_f16_e32 v7, v7, v12
	v_sub_f16_e32 v12, v31, v32
	v_add_f16_e32 v17, v17, v19
	v_add_f16_e32 v19, v11, v33
	v_sub_f16_e32 v13, v26, v29
	v_sub_f16_e32 v21, v27, v26
	;; [unrolled: 1-line block ×3, first 2 shown]
	v_add_f16_e32 v2, v2, v22
	v_add_f16_e32 v4, v4, v5
	;; [unrolled: 1-line block ×3, first 2 shown]
	v_sub_f16_e32 v14, v27, v28
	v_sub_f16_e32 v55, v53, v30
	;; [unrolled: 1-line block ×3, first 2 shown]
	v_add_f16_e32 v15, v15, v27
	v_sub_f16_e32 v27, v30, v31
	v_fma_f16 v16, -0.5, v16, v25
	v_fmac_f16_e32 v25, -0.5, v20
	v_add_f16_e32 v20, v34, v50
	v_add_f16_e32 v57, v33, v51
	;; [unrolled: 1-line block ×5, first 2 shown]
	v_fma_f16 v19, -0.5, v54, v10
	v_sub_f16_e32 v1, v22, v23
	v_add_f16_e32 v21, v21, v26
	v_sub_f16_e32 v26, v33, v34
	v_sub_f16_e32 v56, v51, v50
	v_add_f16_e32 v2, v2, v23
	v_fma_f16 v5, -0.5, v5, v10
	v_sub_f16_e32 v22, v32, v31
	v_sub_f16_e32 v58, v34, v33
	;; [unrolled: 1-line block ×4, first 2 shown]
	v_fmamk_f16 v23, v53, 0x3b9c, v3
	v_fmac_f16_e32 v3, 0xbb9c, v53
	v_fma_f16 v20, -0.5, v20, v11
	v_fmac_f16_e32 v11, -0.5, v57
	v_add_f16_e32 v30, v30, v31
	v_fmamk_f16 v31, v0, 0xbb9c, v19
	v_add_f16_e32 v10, v26, v56
	v_fmamk_f16 v26, v27, 0xbb9c, v18
	;; [unrolled: 2-line block ×3, first 2 shown]
	v_fmac_f16_e32 v18, 0x3b9c, v27
	v_fmac_f16_e32 v5, 0xbb9c, v1
	;; [unrolled: 1-line block ×3, first 2 shown]
	v_sub_f16_e32 v59, v50, v51
	v_add_f16_e32 v22, v55, v22
	v_add_f16_e32 v15, v15, v28
	v_fmamk_f16 v28, v33, 0x3b9c, v16
	v_fmac_f16_e32 v16, 0xbb9c, v33
	v_fmamk_f16 v52, v60, 0xbb9c, v25
	v_fmac_f16_e32 v25, 0x3b9c, v60
	v_fmac_f16_e32 v23, 0x38b4, v27
	;; [unrolled: 1-line block ×3, first 2 shown]
	v_add_f16_e32 v12, v12, v50
	v_fmamk_f16 v27, v13, 0xbb9c, v20
	v_fmac_f16_e32 v20, 0x3b9c, v13
	v_fmamk_f16 v50, v14, 0x3b9c, v11
	v_fmac_f16_e32 v11, 0xbb9c, v14
	v_fmac_f16_e32 v31, 0xb8b4, v1
	;; [unrolled: 1-line block ×7, first 2 shown]
	v_add_f16_e32 v34, v58, v59
	v_add_f16_e32 v15, v15, v29
	v_fmac_f16_e32 v28, 0x38b4, v60
	v_fmac_f16_e32 v16, 0xb8b4, v60
	;; [unrolled: 1-line block ×4, first 2 shown]
	v_add_f16_e32 v29, v30, v32
	v_fmac_f16_e32 v23, 0x34f2, v4
	v_fmac_f16_e32 v27, 0xb8b4, v14
	;; [unrolled: 1-line block ×12, first 2 shown]
	v_add_f16_e32 v0, v12, v51
	v_fmac_f16_e32 v28, 0x34f2, v17
	v_fmac_f16_e32 v16, 0x34f2, v17
	v_fmac_f16_e32 v52, 0x34f2, v21
	v_fmac_f16_e32 v25, 0x34f2, v21
	v_fmac_f16_e32 v27, 0x34f2, v10
	v_fmac_f16_e32 v20, 0x34f2, v10
	v_fmac_f16_e32 v50, 0x34f2, v34
	v_fmac_f16_e32 v11, 0x34f2, v34
	v_pack_b32_f16 v1, v29, v2
	v_pack_b32_f16 v2, v31, v23
	;; [unrolled: 1-line block ×10, first 2 shown]
	ds_write_b32 v45, v2 offset:2000
	ds_write_b32 v45, v4 offset:4000
	;; [unrolled: 1-line block ×4, first 2 shown]
	ds_write2_b32 v45, v1, v0 offset1:250
	ds_write_b32 v45, v6 offset:3000
	ds_write_b32 v45, v7 offset:5000
	;; [unrolled: 1-line block ×4, first 2 shown]
	s_waitcnt lgkmcnt(0)
	s_barrier
	buffer_gl0_inv
	ds_read2_b32 v[2:3], v45 offset1:250
	ds_read2_b32 v[10:11], v48 offset0:4 offset1:254
	ds_read2_b32 v[6:7], v49 offset1:250
	ds_read2_b32 v[18:19], v47 offset0:4 offset1:254
	ds_read2_b32 v[4:5], v46 offset1:250
	v_add_co_u32 v0, vcc_lo, v8, s25
	v_add_co_ci_u32_e32 v1, vcc_lo, s28, v9, vcc_lo
	v_add_co_u32 v12, vcc_lo, v0, s25
	v_add_co_ci_u32_e32 v13, vcc_lo, s28, v1, vcc_lo
	;; [unrolled: 2-line block ×3, first 2 shown]
	v_add_co_u32 v16, vcc_lo, v14, s25
	s_waitcnt lgkmcnt(4)
	v_lshrrev_b32_e32 v20, 16, v2
	v_mul_f16_sdwa v21, v37, v2 dst_sel:DWORD dst_unused:UNUSED_PAD src0_sel:WORD_1 src1_sel:DWORD
	v_lshrrev_b32_e32 v23, 16, v3
	v_mul_f16_sdwa v24, v38, v3 dst_sel:DWORD dst_unused:UNUSED_PAD src0_sel:WORD_1 src1_sel:DWORD
	s_waitcnt lgkmcnt(3)
	v_lshrrev_b32_e32 v25, 16, v10
	v_mul_f16_sdwa v26, v39, v10 dst_sel:DWORD dst_unused:UNUSED_PAD src0_sel:WORD_1 src1_sel:DWORD
	v_fma_f16 v21, v37, v20, -v21
	v_lshrrev_b32_e32 v27, 16, v11
	v_mul_f16_sdwa v28, v40, v11 dst_sel:DWORD dst_unused:UNUSED_PAD src0_sel:WORD_1 src1_sel:DWORD
	s_waitcnt lgkmcnt(2)
	v_lshrrev_b32_e32 v29, 16, v6
	v_mul_f16_sdwa v30, v41, v6 dst_sel:DWORD dst_unused:UNUSED_PAD src0_sel:WORD_1 src1_sel:DWORD
	v_lshrrev_b32_e32 v31, 16, v7
	v_mul_f16_sdwa v32, v42, v7 dst_sel:DWORD dst_unused:UNUSED_PAD src0_sel:WORD_1 src1_sel:DWORD
	v_mul_f16_sdwa v47, v37, v20 dst_sel:DWORD dst_unused:UNUSED_PAD src0_sel:WORD_1 src1_sel:DWORD
	v_fma_f16 v20, v38, v23, -v24
	v_mul_f16_sdwa v23, v38, v23 dst_sel:DWORD dst_unused:UNUSED_PAD src0_sel:WORD_1 src1_sel:DWORD
	v_cvt_f32_f16_e32 v21, v21
	s_waitcnt lgkmcnt(1)
	v_lshrrev_b32_e32 v33, 16, v18
	v_mul_f16_sdwa v34, v43, v18 dst_sel:DWORD dst_unused:UNUSED_PAD src0_sel:WORD_1 src1_sel:DWORD
	v_fma_f16 v24, v39, v25, -v26
	v_fma_f16 v26, v40, v27, -v28
	;; [unrolled: 1-line block ×4, first 2 shown]
	v_mul_f16_sdwa v29, v41, v29 dst_sel:DWORD dst_unused:UNUSED_PAD src0_sel:WORD_1 src1_sel:DWORD
	v_mul_f16_sdwa v31, v42, v31 dst_sel:DWORD dst_unused:UNUSED_PAD src0_sel:WORD_1 src1_sel:DWORD
	v_cvt_f32_f16_e32 v20, v20
	v_fmac_f16_e32 v47, v37, v2
	v_fmac_f16_e32 v23, v38, v3
	v_cvt_f64_f32_e32 v[2:3], v21
	v_lshrrev_b32_e32 v45, 16, v19
	v_fma_f16 v32, v43, v33, -v34
	v_mul_f16_sdwa v34, v39, v25 dst_sel:DWORD dst_unused:UNUSED_PAD src0_sel:WORD_1 src1_sel:DWORD
	v_mul_f16_sdwa v48, v40, v27 dst_sel:DWORD dst_unused:UNUSED_PAD src0_sel:WORD_1 src1_sel:DWORD
	v_cvt_f32_f16_e32 v24, v24
	v_fmac_f16_e32 v29, v41, v6
	v_fmac_f16_e32 v31, v42, v7
	v_cvt_f64_f32_e32 v[6:7], v20
	v_mul_f16_sdwa v33, v43, v33 dst_sel:DWORD dst_unused:UNUSED_PAD src0_sel:WORD_1 src1_sel:DWORD
	v_mul_f16_sdwa v49, v44, v45 dst_sel:DWORD dst_unused:UNUSED_PAD src0_sel:WORD_1 src1_sel:DWORD
	v_cvt_f32_f16_e32 v26, v26
	v_fmac_f16_e32 v34, v39, v10
	v_fmac_f16_e32 v48, v40, v11
	v_cvt_f64_f32_e32 v[10:11], v24
	v_mul_f16_sdwa v46, v44, v19 dst_sel:DWORD dst_unused:UNUSED_PAD src0_sel:WORD_1 src1_sel:DWORD
	v_cvt_f32_f16_e32 v27, v28
	v_fmac_f16_e32 v33, v43, v18
	v_fmac_f16_e32 v49, v44, v19
	v_cvt_f64_f32_e32 v[18:19], v26
	v_fma_f16 v25, v44, v45, -v46
	v_cvt_f32_f16_e32 v28, v30
	v_cvt_f64_f32_e32 v[20:21], v27
	s_waitcnt lgkmcnt(0)
	v_lshrrev_b32_e32 v22, 16, v4
	v_cvt_f32_f16_e32 v30, v32
	v_cvt_f32_f16_e32 v32, v25
	;; [unrolled: 1-line block ×7, first 2 shown]
	v_mul_f64 v[49:50], v[2:3], s[26:27]
	v_cvt_f64_f32_e32 v[24:25], v28
	v_mul_f16_sdwa v55, v36, v22 dst_sel:DWORD dst_unused:UNUSED_PAD src0_sel:WORD_1 src1_sel:DWORD
	v_cvt_f32_f16_e32 v41, v29
	v_cvt_f32_f16_e32 v45, v33
	v_cvt_f64_f32_e32 v[28:29], v32
	v_cvt_f64_f32_e32 v[32:33], v23
	;; [unrolled: 1-line block ×4, first 2 shown]
	v_mul_f64 v[51:52], v[6:7], s[26:27]
	v_cvt_f64_f32_e32 v[26:27], v30
	v_cvt_f64_f32_e32 v[45:46], v45
	v_fmac_f16_e32 v55, v36, v4
	v_mul_f64 v[53:54], v[10:11], s[26:27]
	v_cvt_f64_f32_e32 v[30:31], v37
	v_cvt_f32_f16_e32 v34, v34
	v_mul_f64 v[57:58], v[20:21], s[26:27]
	v_cvt_f32_f16_e32 v23, v55
	v_mul_f64 v[55:56], v[18:19], s[26:27]
	v_add_co_ci_u32_e32 v17, vcc_lo, s28, v15, vcc_lo
	v_cvt_f64_f32_e32 v[37:38], v34
	v_and_or_b32 v34, 0x1ff, v50, v49
	v_add_co_u32 v2, vcc_lo, v16, s25
	v_mul_f64 v[24:25], v[24:25], s[26:27]
	v_add_co_ci_u32_e32 v3, vcc_lo, s28, v17, vcc_lo
	v_mul_f64 v[6:7], v[28:29], s[26:27]
	v_mul_f64 v[28:29], v[32:33], s[26:27]
	;; [unrolled: 1-line block ×4, first 2 shown]
	v_and_or_b32 v43, 0x1ff, v52, v51
	v_cmp_ne_u32_e32 vcc_lo, 0, v34
	v_mul_f64 v[18:19], v[26:27], s[26:27]
	v_mul_f64 v[20:21], v[45:46], s[26:27]
	v_and_or_b32 v46, 0x1ff, v54, v53
	v_cvt_f64_f32_e32 v[41:42], v41
	v_cndmask_b32_e64 v34, 0, 1, vcc_lo
	v_cmp_ne_u32_e32 vcc_lo, 0, v43
	v_mul_f64 v[26:27], v[30:31], s[26:27]
	v_and_or_b32 v49, 0x1ff, v56, v55
	v_and_or_b32 v55, 0x1ff, v58, v57
	v_mul_f64 v[30:31], v[37:38], s[26:27]
	v_cndmask_b32_e64 v43, 0, 1, vcc_lo
	v_cmp_ne_u32_e32 vcc_lo, 0, v46
	v_cvt_f64_f32_e32 v[47:48], v47
	v_and_or_b32 v24, 0x1ff, v25, v24
	v_lshrrev_b32_e32 v60, 8, v25
	v_bfe_u32 v61, v25, 20, 11
	v_cndmask_b32_e64 v46, 0, 1, vcc_lo
	v_cmp_ne_u32_e32 vcc_lo, 0, v49
	v_and_or_b32 v28, 0x1ff, v29, v28
	v_and_or_b32 v32, 0x1ff, v33, v32
	;; [unrolled: 1-line block ×3, first 2 shown]
	v_lshrrev_b32_e32 v44, 8, v52
	v_cndmask_b32_e64 v49, 0, 1, vcc_lo
	v_cmp_ne_u32_e32 vcc_lo, 0, v55
	v_and_or_b32 v62, 0x1ff, v19, v18
	v_mul_f64 v[37:38], v[41:42], s[26:27]
	v_lshrrev_b32_e32 v18, 16, v25
	v_bfe_u32 v45, v52, 20, 11
	v_cndmask_b32_e64 v55, 0, 1, vcc_lo
	v_cmp_ne_u32_e32 vcc_lo, 0, v24
	v_and_or_b32 v25, 0x1ff, v27, v26
	v_and_or_b32 v30, 0x1ff, v31, v30
	;; [unrolled: 1-line block ×3, first 2 shown]
	v_bfe_u32 v42, v50, 20, 11
	v_cndmask_b32_e64 v77, 0, 1, vcc_lo
	v_cmp_ne_u32_e32 vcc_lo, 0, v62
	v_mul_f64 v[10:11], v[47:48], s[26:27]
	v_lshrrev_b32_e32 v47, 8, v54
	v_bfe_u32 v48, v54, 20, 11
	v_bfe_u32 v64, v19, 20, 11
	v_cndmask_b32_e64 v62, 0, 1, vcc_lo
	v_cmp_ne_u32_e32 vcc_lo, 0, v25
	v_lshrrev_b32_e32 v26, 8, v27
	v_sub_nc_u32_e32 v66, 0x3f1, v45
	v_and_or_b32 v43, 0xffe, v44, v43
	v_lshrrev_b32_e32 v41, 8, v50
	v_cndmask_b32_e64 v25, 0, 1, vcc_lo
	v_cmp_ne_u32_e32 vcc_lo, 0, v28
	v_and_or_b32 v37, 0x1ff, v38, v37
	v_lshrrev_b32_e32 v51, 8, v56
	v_sub_nc_u32_e32 v65, 0x3f1, v42
	v_sub_nc_u32_e32 v67, 0x3f1, v48
	v_cndmask_b32_e64 v28, 0, 1, vcc_lo
	v_cmp_ne_u32_e32 vcc_lo, 0, v30
	v_sub_nc_u32_e32 v71, 0x3f1, v64
	v_lshrrev_b32_e32 v73, 8, v29
	v_lshrrev_b32_e32 v80, 8, v38
	v_add_nc_u32_e32 v24, 0xfffffc10, v64
	v_cndmask_b32_e64 v30, 0, 1, vcc_lo
	v_cmp_ne_u32_e32 vcc_lo, 0, v32
	v_and_or_b32 v10, 0x1ff, v11, v10
	v_med3_i32 v64, v66, 0, 13
	v_and_or_b32 v46, 0xffe, v47, v46
	v_and_or_b32 v25, 0xffe, v26, v25
	v_cndmask_b32_e64 v32, 0, 1, vcc_lo
	v_cmp_ne_u32_e32 vcc_lo, 0, v37
	v_or_b32_e32 v26, 0x1000, v43
	v_bfe_u32 v53, v56, 20, 11
	v_lshrrev_b32_e32 v57, 8, v58
	v_bfe_u32 v59, v58, 20, 11
	v_cndmask_b32_e64 v37, 0, 1, vcc_lo
	v_cmp_ne_u32_e32 vcc_lo, 0, v39
	v_lshrrev_b32_e32 v84, 8, v21
	v_lshrrev_b32_e32 v86, 8, v11
	v_and_or_b32 v34, 0xffe, v41, v34
	v_med3_i32 v41, v65, 0, 13
	v_cndmask_b32_e64 v39, 0, 1, vcc_lo
	v_cmp_ne_u32_e32 vcc_lo, 0, v20
	v_med3_i32 v65, v67, 0, 13
	v_and_or_b32 v47, 0xffe, v51, v49
	v_and_or_b32 v51, 0xffe, v60, v77
	;; [unrolled: 1-line block ×3, first 2 shown]
	v_cndmask_b32_e64 v20, 0, 1, vcc_lo
	v_cmp_ne_u32_e32 vcc_lo, 0, v10
	v_or_b32_e32 v73, 0x1000, v46
	v_and_or_b32 v37, 0xffe, v80, v37
	v_lshrrev_b32_e32 v80, v64, v26
	v_sub_nc_u32_e32 v68, 0x3f1, v53
	v_cndmask_b32_e64 v60, 0, 1, vcc_lo
	v_sub_nc_u32_e32 v69, 0x3f1, v59
	v_lshrrev_b32_e32 v75, 8, v31
	v_lshrrev_b32_e32 v78, 8, v33
	v_and_or_b32 v49, 0xffe, v57, v55
	v_and_or_b32 v84, 0xffe, v84, v20
	v_lshlrev_b32_e32 v64, v64, v80
	v_and_or_b32 v20, 0xffe, v86, v60
	v_lshrrev_b32_e32 v60, v65, v73
	v_lshrrev_b32_e32 v63, 8, v19
	v_sub_nc_u32_e32 v70, 0x3f1, v61
	v_lshrrev_b32_e32 v82, 8, v40
	v_bfe_u32 v85, v21, 20, 11
	v_bfe_u32 v87, v11, 20, 11
	v_med3_i32 v66, v68, 0, 13
	v_med3_i32 v67, v69, 0, 13
	v_and_or_b32 v30, 0xffe, v75, v30
	v_or_b32_e32 v75, 0x1000, v47
	v_and_or_b32 v32, 0xffe, v78, v32
	v_or_b32_e32 v78, 0x1000, v49
	v_cmp_ne_u32_e32 vcc_lo, v64, v26
	v_lshlrev_b32_e32 v64, v65, v60
	v_bfe_u32 v74, v29, 20, 11
	v_med3_i32 v68, v70, 0, 13
	v_and_or_b32 v57, 0xffe, v63, v62
	v_sub_nc_u32_e32 v77, 0x3f1, v85
	v_sub_nc_u32_e32 v88, 0x3f1, v87
	v_and_or_b32 v39, 0xffe, v82, v39
	v_or_b32_e32 v82, 0x1000, v51
	v_lshrrev_b32_e32 v65, v66, v75
	v_cmp_ne_u32_e64 s0, v64, v73
	v_lshrrev_b32_e32 v64, v67, v78
	v_bfe_u32 v76, v31, 20, 11
	v_med3_i32 v69, v71, 0, 13
	v_sub_nc_u32_e32 v44, 0x3f1, v74
	v_or_b32_e32 v86, 0x1000, v57
	v_lshlrev_b32_e32 v66, v66, v65
	v_med3_i32 v73, v77, 0, 13
	v_med3_i32 v77, v88, 0, 13
	v_lshrrev_b32_e32 v88, v68, v82
	v_lshlrev_b32_e32 v67, v67, v64
	v_sub_nc_u32_e32 v55, 0x3f1, v76
	v_med3_i32 v44, v44, 0, 13
	v_cmp_ne_u32_e64 s1, v66, v75
	v_lshrrev_b32_e32 v75, v69, v86
	v_lshlrev_b32_e32 v68, v68, v88
	v_cmp_ne_u32_e64 s2, v67, v78
	v_or_b32_e32 v67, 0x1000, v28
	v_bfe_u32 v72, v27, 20, 11
	v_bfe_u32 v83, v40, 20, 11
	v_med3_i32 v55, v55, 0, 13
	v_lshlrev_b32_e32 v69, v69, v75
	v_cmp_ne_u32_e64 s3, v68, v82
	v_or_b32_e32 v68, 0x1000, v30
	v_lshrrev_b32_e32 v82, v44, v67
	v_sub_nc_u32_e32 v70, 0x3f1, v72
	v_sub_nc_u32_e32 v71, 0x3f1, v83
	v_cmp_ne_u32_e64 s4, v69, v86
	v_lshrrev_b32_e32 v86, v55, v68
	v_lshlrev_b32_e32 v44, v44, v82
	v_bfe_u32 v79, v33, 20, 11
	v_med3_i32 v70, v70, 0, 13
	v_med3_i32 v71, v71, 0, 13
	v_or_b32_e32 v66, 0x1000, v25
	v_lshlrev_b32_e32 v55, v55, v86
	v_cmp_ne_u32_e64 s6, v44, v67
	v_or_b32_e32 v44, 0x1000, v39
	v_sub_nc_u32_e32 v62, 0x3f1, v79
	v_lshrrev_b32_e32 v78, v70, v66
	v_cmp_ne_u32_e64 s7, v55, v68
	v_bfe_u32 v81, v38, 20, 11
	v_lshrrev_b32_e32 v68, v71, v44
	v_add_nc_u32_e32 v10, 0xfffffc10, v87
	v_or_b32_e32 v87, 0x1000, v34
	v_med3_i32 v62, v62, 0, 13
	v_lshlrev_b32_e32 v70, v70, v78
	v_or_b32_e32 v69, 0x1000, v32
	v_lshlrev_b32_e32 v71, v71, v68
	v_sub_nc_u32_e32 v63, 0x3f1, v81
	v_add_nc_u32_e32 v42, 0xfffffc10, v42
	v_cmp_ne_u32_e64 s5, v70, v66
	v_lshrrev_b32_e32 v70, v62, v69
	v_cmp_ne_u32_e64 s10, v71, v44
	v_lshrrev_b32_e32 v71, v41, v87
	v_med3_i32 v63, v63, 0, 13
	v_or_b32_e32 v66, 0x1000, v37
	v_lshlrev_b32_e32 v62, v62, v70
	v_or_b32_e32 v55, 0x1000, v84
	v_lshlrev_b32_e32 v41, v41, v71
	v_cmp_ne_u32_e64 s13, 0, v34
	v_add_nc_u32_e32 v48, 0xfffffc10, v48
	v_lshl_or_b32 v26, v42, 12, v34
	v_lshrrev_b32_e32 v67, v63, v66
	v_cmp_ne_u32_e64 s8, v62, v69
	v_lshrrev_b32_e32 v69, v73, v55
	v_cndmask_b32_e64 v34, 0, 1, s13
	v_cmp_ne_u32_e64 s13, v41, v87
	v_cndmask_b32_e64 v87, 0, 1, vcc_lo
	v_cmp_ne_u32_e32 vcc_lo, 0, v46
	v_add_nc_u32_e32 v53, 0xfffffc10, v53
	v_lshlrev_b32_e32 v63, v63, v67
	v_or_b32_e32 v62, 0x1000, v20
	v_lshlrev_b32_e32 v73, v73, v69
	v_lshl_or_b32 v44, v48, 12, v46
	v_cndmask_b32_e64 v46, 0, 1, vcc_lo
	v_cmp_ne_u32_e32 vcc_lo, 0, v47
	v_add_nc_u32_e32 v59, 0xfffffc10, v59
	v_cmp_ne_u32_e64 s9, v63, v66
	v_lshrrev_b32_e32 v66, v77, v62
	v_cmp_ne_u32_e64 s11, v73, v55
	v_lshl_or_b32 v55, v53, 12, v47
	v_cndmask_b32_e64 v47, 0, 1, vcc_lo
	v_cmp_ne_u32_e32 vcc_lo, 0, v49
	v_add_nc_u32_e32 v61, 0xfffffc10, v61
	v_lshlrev_b32_e32 v77, v77, v66
	v_lshl_or_b32 v73, v59, 12, v49
	v_cndmask_b32_e64 v41, 0, 1, s13
	v_cndmask_b32_e64 v49, 0, 1, vcc_lo
	v_cmp_ne_u32_e32 vcc_lo, 0, v51
	v_add_nc_u32_e32 v45, 0xfffffc10, v45
	v_cmp_ne_u32_e64 s12, v77, v62
	v_lshl_or_b32 v62, v61, 12, v51
	v_or_b32_e32 v41, v71, v41
	v_cndmask_b32_e64 v51, 0, 1, vcc_lo
	v_cmp_gt_i32_e32 vcc_lo, 1, v42
	v_lshl_or_b32 v63, v45, 12, v43
	v_cndmask_b32_e64 v71, 0, 1, s0
	v_or_b32_e32 v80, v80, v87
	v_cndmask_b32_e64 v87, 0, 1, s1
	v_cndmask_b32_e32 v26, v26, v41, vcc_lo
	v_cmp_gt_i32_e32 vcc_lo, 1, v45
	v_or_b32_e32 v60, v60, v71
	v_cndmask_b32_e64 v71, 0, 1, s2
	v_or_b32_e32 v65, v65, v87
	v_cndmask_b32_e64 v87, 0, 1, s3
	v_cndmask_b32_e32 v63, v63, v80, vcc_lo
	v_cmp_gt_i32_e32 vcc_lo, 1, v48
	v_or_b32_e32 v64, v64, v71
	v_add_nc_u32_e32 v79, 0xfffffc10, v79
	v_cndmask_b32_e64 v71, 0, 1, s4
	v_or_b32_e32 v87, v88, v87
	v_cndmask_b32_e32 v44, v44, v60, vcc_lo
	v_cmp_gt_i32_e32 vcc_lo, 1, v53
	v_cndmask_b32_e64 v88, 0, 1, s5
	v_add_nc_u32_e32 v72, 0xfffffc10, v72
	v_or_b32_e32 v71, v75, v71
	v_cndmask_b32_e64 v75, 0, 1, s6
	v_cndmask_b32_e32 v55, v55, v65, vcc_lo
	v_cmp_gt_i32_e32 vcc_lo, 1, v59
	v_or_b32_e32 v78, v78, v88
	v_lshl_or_b32 v88, v79, 12, v32
	v_add_nc_u32_e32 v74, 0xfffffc10, v74
	v_cndmask_b32_e64 v41, 0, 1, s7
	v_cndmask_b32_e32 v64, v73, v64, vcc_lo
	v_cmp_ne_u32_e32 vcc_lo, 0, v32
	v_or_b32_e32 v75, v82, v75
	v_lshl_or_b32 v82, v72, 12, v25
	v_add_nc_u32_e32 v76, 0xfffffc10, v76
	v_cndmask_b32_e64 v80, 0, 1, s8
	v_cndmask_b32_e64 v32, 0, 1, vcc_lo
	v_cmp_ne_u32_e32 vcc_lo, 0, v25
	v_or_b32_e32 v41, v86, v41
	v_lshl_or_b32 v86, v74, 12, v28
	v_add_nc_u32_e32 v81, 0xfffffc10, v81
	v_cndmask_b32_e64 v60, 0, 1, s9
	v_cndmask_b32_e64 v25, 0, 1, vcc_lo
	v_cmp_ne_u32_e32 vcc_lo, 0, v28
	v_or_b32_e32 v70, v70, v80
	v_lshl_or_b32 v80, v76, 12, v30
	v_add_nc_u32_e32 v83, 0xfffffc10, v83
	v_or_b32_e32 v60, v67, v60
	v_cndmask_b32_e64 v28, 0, 1, vcc_lo
	v_cmp_ne_u32_e32 vcc_lo, 0, v30
	v_lshl_or_b32 v67, v81, 12, v37
	v_add_nc_u32_e32 v85, 0xfffffc10, v85
	v_cndmask_b32_e64 v65, 0, 1, s10
	v_lshl_or_b32 v73, v83, 12, v39
	v_cndmask_b32_e64 v30, 0, 1, vcc_lo
	v_cmp_ne_u32_e32 vcc_lo, 0, v37
	v_lshl_or_b32 v77, v24, 12, v57
	v_or_b32_e32 v65, v68, v65
	v_lshl_or_b32 v68, v85, 12, v84
	v_cmp_ne_u32_e64 s13, 0, v43
	v_cndmask_b32_e64 v37, 0, 1, vcc_lo
	v_cmp_ne_u32_e32 vcc_lo, 0, v39
	v_lshl_or_b32 v34, v34, 9, 0x7c00
	v_lshl_or_b32 v46, v46, 9, 0x7c00
	v_cndmask_b32_e64 v43, 0, 1, s13
	v_lshl_or_b32 v47, v47, 9, 0x7c00
	v_cndmask_b32_e64 v39, 0, 1, vcc_lo
	v_cmp_ne_u32_e32 vcc_lo, 0, v84
	v_lshl_or_b32 v49, v49, 9, 0x7c00
	v_lshl_or_b32 v43, v43, 9, 0x7c00
	;; [unrolled: 1-line block ×4, first 2 shown]
	v_cndmask_b32_e64 v84, 0, 1, vcc_lo
	v_cmp_gt_i32_e32 vcc_lo, 1, v61
	v_lshl_or_b32 v28, v28, 9, 0x7c00
	v_lshl_or_b32 v30, v30, 9, 0x7c00
	;; [unrolled: 1-line block ×4, first 2 shown]
	v_cndmask_b32_e32 v62, v62, v87, vcc_lo
	v_cmp_gt_i32_e32 vcc_lo, 1, v24
	v_cndmask_b32_e64 v87, 0, 1, s11
	v_lshrrev_b32_e32 v27, 16, v27
	v_lshrrev_b32_e32 v29, 16, v29
	;; [unrolled: 1-line block ×3, first 2 shown]
	v_cndmask_b32_e32 v71, v77, v71, vcc_lo
	v_cmp_gt_i32_e32 vcc_lo, 1, v72
	v_or_b32_e32 v69, v69, v87
	v_cndmask_b32_e64 v87, 0, 1, s12
	v_lshrrev_b32_e32 v33, 16, v33
	v_lshrrev_b32_e32 v38, 16, v38
	v_cndmask_b32_e32 v77, v82, v78, vcc_lo
	v_cmp_gt_i32_e32 vcc_lo, 1, v74
	v_and_b32_e32 v78, 7, v55
	v_and_b32_e32 v82, 7, v62
	v_lshrrev_b32_e32 v55, 2, v55
	v_lshrrev_b32_e32 v62, 2, v62
	v_cndmask_b32_e32 v75, v86, v75, vcc_lo
	v_cmp_gt_i32_e32 vcc_lo, 1, v76
	v_cmp_lt_i32_e64 s5, 5, v78
	v_cmp_eq_u32_e64 s6, 3, v78
	v_and_b32_e32 v86, 7, v71
	v_cmp_lt_i32_e64 s9, 5, v82
	v_cndmask_b32_e32 v41, v80, v41, vcc_lo
	v_cmp_gt_i32_e32 vcc_lo, 1, v79
	v_and_b32_e32 v80, 7, v64
	v_lshrrev_b32_e32 v64, 2, v64
	v_cmp_eq_u32_e64 s10, 3, v82
	v_cmp_lt_i32_e64 s11, 5, v86
	v_cndmask_b32_e32 v70, v88, v70, vcc_lo
	v_cmp_gt_i32_e32 vcc_lo, 1, v81
	v_cmp_lt_i32_e64 s7, 5, v80
	v_cmp_eq_u32_e64 s8, 3, v80
	v_cmp_eq_u32_e64 s12, 3, v86
	v_and_b32_e32 v78, 7, v70
	v_cndmask_b32_e32 v60, v67, v60, vcc_lo
	v_cmp_gt_i32_e32 vcc_lo, 1, v83
	v_and_b32_e32 v67, 7, v26
	v_lshrrev_b32_e32 v26, 2, v26
	v_cmp_lt_i32_e64 s19, 5, v78
	v_cmp_eq_u32_e64 s20, 3, v78
	v_cndmask_b32_e32 v65, v73, v65, vcc_lo
	v_cmp_gt_i32_e32 vcc_lo, 1, v85
	v_and_b32_e32 v73, 7, v44
	v_lshrrev_b32_e32 v44, 2, v44
	v_cmp_eq_u32_e64 s0, 3, v67
	v_lshrrev_b32_e32 v70, 2, v70
	v_cndmask_b32_e32 v68, v68, v69, vcc_lo
	v_and_b32_e32 v69, 7, v63
	v_lshrrev_b32_e32 v63, 2, v63
	v_cmp_lt_i32_e64 s3, 5, v73
	v_cmp_eq_u32_e64 s4, 3, v73
	v_cmp_lt_i32_e32 vcc_lo, 5, v67
	v_cmp_lt_i32_e64 s1, 5, v69
	v_cmp_eq_u32_e64 s2, 3, v69
	v_and_b32_e32 v86, 7, v68
	v_lshrrev_b32_e32 v68, 2, v68
	s_or_b32 vcc_lo, s0, vcc_lo
	v_and_b32_e32 v67, 7, v77
	s_or_b32 s1, s2, s1
	v_add_co_ci_u32_e32 v26, vcc_lo, 0, v26, vcc_lo
	v_add_co_ci_u32_e64 v63, s1, 0, v63, s1
	s_or_b32 s1, s4, s3
	v_cmp_lt_i32_e32 vcc_lo, 5, v86
	v_add_co_ci_u32_e64 v44, s1, 0, v44, s1
	s_or_b32 s1, s6, s5
	v_cmp_eq_u32_e64 s0, 3, v86
	v_add_co_ci_u32_e64 v55, s1, 0, v55, s1
	s_or_b32 s1, s8, s7
	v_cmp_lt_i32_e64 s13, 5, v67
	v_add_co_ci_u32_e64 v64, s1, 0, v64, s1
	s_or_b32 s1, s10, s9
	s_or_b32 vcc_lo, s0, vcc_lo
	v_add_co_ci_u32_e64 v62, s1, 0, v62, s1
	v_cmp_gt_i32_e64 s1, 31, v42
	v_add_co_ci_u32_e32 v68, vcc_lo, 0, v68, vcc_lo
	v_cmp_eq_u32_e32 vcc_lo, 0x40f, v42
	v_cmp_eq_u32_e64 s14, 3, v67
	v_cndmask_b32_e64 v26, 0x7c00, v26, s1
	v_cmp_gt_i32_e64 s1, 31, v45
	v_and_b32_e32 v69, 7, v75
	v_lshrrev_b32_e32 v77, 2, v77
	v_and_b32_e32 v73, 7, v41
	v_cndmask_b32_e32 v26, v26, v34, vcc_lo
	v_cndmask_b32_e64 v63, 0x7c00, v63, s1
	v_cmp_gt_i32_e64 s1, 31, v48
	v_cmp_eq_u32_e32 vcc_lo, 0x40f, v45
	v_cmp_lt_i32_e64 s15, 5, v69
	v_cmp_eq_u32_e64 s16, 3, v69
	v_lshrrev_b32_e32 v75, 2, v75
	v_cndmask_b32_e64 v44, 0x7c00, v44, s1
	v_cndmask_b32_e32 v34, v63, v43, vcc_lo
	v_cmp_eq_u32_e32 vcc_lo, 0x40f, v48
	s_or_b32 s1, s20, s19
	v_and_b32_e32 v80, 7, v60
	v_add_co_ci_u32_e64 v67, s1, 0, v70, s1
	v_cmp_gt_i32_e64 s1, 31, v53
	v_cndmask_b32_e32 v42, v44, v46, vcc_lo
	v_cmp_gt_i32_e32 vcc_lo, 31, v79
	v_cmp_lt_i32_e64 s17, 5, v73
	v_cmp_eq_u32_e64 s18, 3, v73
	v_cndmask_b32_e64 v55, 0x7c00, v55, s1
	v_cmp_gt_i32_e64 s1, 31, v59
	v_cndmask_b32_e32 v43, 0x7c00, v67, vcc_lo
	v_cmp_eq_u32_e32 vcc_lo, 0x40f, v53
	v_lshrrev_b32_e32 v41, 2, v41
	v_and_b32_e32 v82, 7, v65
	v_cndmask_b32_e64 v64, 0x7c00, v64, s1
	s_or_b32 s1, s14, s13
	v_cndmask_b32_e32 v44, v55, v47, vcc_lo
	v_cmp_eq_u32_e32 vcc_lo, 0x40f, v59
	v_add_co_ci_u32_e64 v69, s1, 0, v77, s1
	v_cmp_gt_i32_e64 s1, 31, v61
	v_cmp_lt_i32_e64 s21, 5, v80
	v_cndmask_b32_e32 v45, v64, v49, vcc_lo
	v_cmp_gt_i32_e32 vcc_lo, 31, v72
	v_cmp_eq_u32_e64 s22, 3, v80
	v_cndmask_b32_e64 v62, 0x7c00, v62, s1
	s_or_b32 s1, s16, s15
	v_lshrrev_b32_e32 v60, 2, v60
	v_cndmask_b32_e32 v46, 0x7c00, v69, vcc_lo
	v_cmp_eq_u32_e32 vcc_lo, 0x40f, v61
	v_add_co_ci_u32_e64 v70, s1, 0, v75, s1
	s_or_b32 s1, s18, s17
	v_cmp_lt_i32_e64 s23, 5, v82
	v_cndmask_b32_e32 v47, v62, v51, vcc_lo
	v_cmp_gt_i32_e32 vcc_lo, 31, v74
	v_add_co_ci_u32_e64 v41, s1, 0, v41, s1
	v_cmp_eq_u32_e64 s24, 3, v82
	s_or_b32 s1, s22, s21
	v_cndmask_b32_e32 v48, 0x7c00, v70, vcc_lo
	v_cmp_gt_i32_e32 vcc_lo, 31, v76
	v_lshrrev_b32_e32 v65, 2, v65
	v_add_co_ci_u32_e64 v60, s1, 0, v60, s1
	s_or_b32 s1, s24, s23
	v_cndmask_b32_e32 v41, 0x7c00, v41, vcc_lo
	v_cmp_gt_i32_e32 vcc_lo, 31, v81
	v_add_co_ci_u32_e64 v65, s1, 0, v65, s1
	v_lshrrev_b32_e32 v50, 16, v50
	v_lshrrev_b32_e32 v52, 16, v52
	v_cndmask_b32_e32 v49, 0x7c00, v60, vcc_lo
	v_cmp_gt_i32_e32 vcc_lo, 31, v83
	v_lshrrev_b32_e32 v54, 16, v54
	v_lshrrev_b32_e32 v56, 16, v56
	v_lshl_or_b32 v39, v39, 9, 0x7c00
	v_lshrrev_b32_e32 v58, 16, v58
	v_cndmask_b32_e32 v51, 0x7c00, v65, vcc_lo
	v_cmp_gt_i32_e32 vcc_lo, 31, v85
	v_and_or_b32 v26, 0x8000, v50, v26
	v_and_or_b32 v34, 0x8000, v52, v34
	v_lshl_or_b32 v84, v84, 9, 0x7c00
	v_lshrrev_b32_e32 v71, 2, v71
	v_cndmask_b32_e32 v53, 0x7c00, v68, vcc_lo
	v_cmp_eq_u32_e32 vcc_lo, 0x40f, v72
	v_and_or_b32 v6, 0x1ff, v7, v6
	v_mul_f16_sdwa v4, v36, v4 dst_sel:DWORD dst_unused:UNUSED_PAD src0_sel:WORD_1 src1_sel:DWORD
	v_lshrrev_b32_e32 v40, 16, v40
	v_and_or_b32 v18, 0x8000, v18, v47
	v_cndmask_b32_e32 v25, v46, v25, vcc_lo
	v_cmp_eq_u32_e32 vcc_lo, 0x40f, v74
	v_fma_f16 v4, v36, v22, -v4
	v_and_or_b32 v25, 0x8000, v27, v25
	v_cndmask_b32_e32 v28, v48, v28, vcc_lo
	v_cmp_eq_u32_e32 vcc_lo, 0x40f, v76
	v_cvt_f32_f16_e32 v4, v4
	v_and_b32_e32 v25, 0xffff, v25
	v_and_or_b32 v27, 0x8000, v29, v28
	v_cndmask_b32_e32 v30, v41, v30, vcc_lo
	v_cmp_eq_u32_e32 vcc_lo, 0x40f, v79
	v_and_or_b32 v41, 0x8000, v54, v42
	v_and_or_b32 v42, 0x8000, v56, v44
	v_and_b32_e32 v27, 0xffff, v27
	v_and_or_b32 v28, 0x8000, v31, v30
	v_cndmask_b32_e32 v32, v43, v32, vcc_lo
	v_cmp_eq_u32_e32 vcc_lo, 0x40f, v81
	v_and_or_b32 v43, 0x8000, v58, v45
	v_lshl_or_b32 v25, v26, 16, v25
	v_and_b32_e32 v28, 0xffff, v28
	v_and_or_b32 v29, 0x8000, v33, v32
	v_cndmask_b32_e32 v37, v49, v37, vcc_lo
	v_cmp_eq_u32_e32 vcc_lo, 0x40f, v83
	v_lshl_or_b32 v26, v34, 16, v27
	v_lshl_or_b32 v27, v41, 16, v28
	v_and_b32_e32 v29, 0xffff, v29
	v_and_or_b32 v30, 0x8000, v38, v37
	v_cndmask_b32_e32 v39, v51, v39, vcc_lo
	v_cmp_eq_u32_e32 vcc_lo, 0x40f, v85
	v_lshl_or_b32 v28, v42, 16, v29
	v_and_b32_e32 v30, 0xffff, v30
	v_and_or_b32 v31, 0x8000, v40, v39
	v_cndmask_b32_e32 v44, v53, v84, vcc_lo
	s_or_b32 vcc_lo, s12, s11
	v_lshl_or_b32 v29, v43, 16, v30
	global_store_dword v[8:9], v25, off
	global_store_dword v[0:1], v26, off
	;; [unrolled: 1-line block ×5, first 2 shown]
	v_add_co_ci_u32_e32 v8, vcc_lo, 0, v71, vcc_lo
	v_cmp_ne_u32_e32 vcc_lo, 0, v57
	v_cvt_f64_f32_e32 v[0:1], v23
	v_or_b32_e32 v9, v66, v87
	v_lshl_or_b32 v12, v10, 12, v20
	v_bfe_u32 v15, v7, 20, 11
	v_cndmask_b32_e64 v14, 0, 1, vcc_lo
	v_cmp_gt_i32_e32 vcc_lo, 1, v10
	v_lshrrev_b32_e32 v13, 16, v21
	v_lshrrev_b32_e32 v17, 16, v19
	v_and_b32_e32 v31, 0xffff, v31
	v_lshl_or_b32 v14, v14, 9, 0x7c00
	v_cndmask_b32_e32 v9, v12, v9, vcc_lo
	v_cmp_ne_u32_e32 vcc_lo, 0, v6
	v_lshrrev_b32_e32 v12, 8, v7
	v_and_or_b32 v13, 0x8000, v13, v44
	v_lshrrev_b32_e32 v7, 16, v7
	v_and_b32_e32 v16, 7, v9
	v_cndmask_b32_e64 v6, 0, 1, vcc_lo
	v_cmp_gt_i32_e32 vcc_lo, 31, v24
	v_lshrrev_b32_e32 v9, 2, v9
	v_and_b32_e32 v13, 0xffff, v13
	v_cmp_eq_u32_e64 s0, 3, v16
	v_and_or_b32 v6, 0xffe, v12, v6
	v_cndmask_b32_e32 v8, 0x7c00, v8, vcc_lo
	v_sub_nc_u32_e32 v12, 0x3f1, v15
	v_cmp_eq_u32_e32 vcc_lo, 0x40f, v24
	v_mul_f64 v[0:1], v[0:1], s[26:27]
	v_lshl_or_b32 v18, v18, 16, v31
	v_med3_i32 v12, v12, 0, 13
	v_cndmask_b32_e32 v8, v8, v14, vcc_lo
	v_or_b32_e32 v14, 0x1000, v6
	v_cmp_lt_i32_e32 vcc_lo, 5, v16
	v_and_or_b32 v8, 0x8000, v17, v8
	v_lshrrev_b32_e32 v16, v12, v14
	s_or_b32 vcc_lo, s0, vcc_lo
	v_add_co_ci_u32_e32 v9, vcc_lo, 0, v9, vcc_lo
	v_lshlrev_b32_e32 v12, v12, v16
	v_cmp_ne_u32_e32 vcc_lo, 0, v20
	v_lshl_or_b32 v19, v8, 16, v13
	v_cndmask_b32_e64 v17, 0, 1, vcc_lo
	v_cmp_ne_u32_e32 vcc_lo, v12, v14
	v_and_or_b32 v0, 0x1ff, v1, v0
	v_add_nc_u32_e32 v14, 0xfffffc10, v15
	v_lshrrev_b32_e32 v15, 8, v1
	v_bfe_u32 v20, v1, 20, 11
	v_cndmask_b32_e64 v12, 0, 1, vcc_lo
	v_cmp_gt_i32_e32 vcc_lo, 31, v10
	v_lshrrev_b32_e32 v1, 16, v1
	v_or_b32_e32 v12, v16, v12
	v_cndmask_b32_e32 v13, 0x7c00, v9, vcc_lo
	v_cmp_ne_u32_e32 vcc_lo, 0, v0
	v_cvt_f64_f32_e32 v[8:9], v4
	v_lshrrev_b32_e32 v4, 16, v5
	v_lshl_or_b32 v16, v14, 12, v6
	v_cndmask_b32_e64 v0, 0, 1, vcc_lo
	v_cmp_gt_i32_e32 vcc_lo, 1, v14
	v_mul_f16_sdwa v21, v35, v4 dst_sel:DWORD dst_unused:UNUSED_PAD src0_sel:WORD_1 src1_sel:DWORD
	v_and_or_b32 v0, 0xffe, v15, v0
	v_sub_nc_u32_e32 v15, 0x3f1, v20
	v_cndmask_b32_e32 v16, v16, v12, vcc_lo
	v_fmac_f16_e32 v21, v35, v5
	v_lshl_or_b32 v12, v17, 9, 0x7c00
	v_or_b32_e32 v17, 0x1000, v0
	v_med3_i32 v15, v15, 0, 13
	v_and_b32_e32 v22, 7, v16
	v_cmp_eq_u32_e32 vcc_lo, 0x40f, v10
	v_cvt_f32_f16_e32 v21, v21
	v_mul_f16_sdwa v5, v35, v5 dst_sel:DWORD dst_unused:UNUSED_PAD src0_sel:WORD_1 src1_sel:DWORD
	v_lshrrev_b32_e32 v10, v15, v17
	v_cmp_eq_u32_e64 s0, 3, v22
	v_cndmask_b32_e32 v23, v13, v12, vcc_lo
	v_cmp_lt_i32_e32 vcc_lo, 5, v22
	v_cvt_f64_f32_e32 v[12:13], v21
	v_lshrrev_b32_e32 v21, 16, v11
	v_lshrrev_b32_e32 v11, 2, v16
	v_lshlrev_b32_e32 v15, v15, v10
	s_or_b32 vcc_lo, s0, vcc_lo
	v_mul_f64 v[8:9], v[8:9], s[26:27]
	v_fma_f16 v4, v35, v4, -v5
	v_add_co_ci_u32_e32 v11, vcc_lo, 0, v11, vcc_lo
	v_cmp_ne_u32_e32 vcc_lo, v15, v17
	v_add_nc_u32_e32 v15, 0xfffffc10, v20
	v_cvt_f32_f16_e32 v4, v4
	v_and_or_b32 v21, 0x8000, v21, v23
	v_cndmask_b32_e64 v5, 0, 1, vcc_lo
	v_cmp_ne_u32_e32 vcc_lo, 0, v6
	v_lshl_or_b32 v17, v15, 12, v0
	v_or_b32_e32 v16, v10, v5
	v_cndmask_b32_e64 v6, 0, 1, vcc_lo
	v_cmp_gt_i32_e32 vcc_lo, 31, v14
	v_cvt_f64_f32_e32 v[4:5], v4
	v_lshl_or_b32 v6, v6, 9, 0x7c00
	v_cndmask_b32_e32 v20, 0x7c00, v11, vcc_lo
	v_mul_f64 v[10:11], v[12:13], s[26:27]
	v_add_co_u32 v12, vcc_lo, v2, s25
	v_add_co_ci_u32_e32 v13, vcc_lo, s28, v3, vcc_lo
	v_cmp_gt_i32_e32 vcc_lo, 1, v15
	v_and_or_b32 v8, 0x1ff, v9, v8
	v_cndmask_b32_e32 v16, v17, v16, vcc_lo
	v_cmp_eq_u32_e32 vcc_lo, 0x40f, v14
	v_lshrrev_b32_e32 v14, 8, v9
	v_bfe_u32 v17, v9, 20, 11
	v_lshrrev_b32_e32 v9, 16, v9
	v_cndmask_b32_e32 v6, v20, v6, vcc_lo
	v_cmp_ne_u32_e32 vcc_lo, 0, v8
	v_and_b32_e32 v20, 7, v16
	v_mul_f64 v[4:5], v[4:5], s[26:27]
	v_lshrrev_b32_e32 v16, 2, v16
	v_and_or_b32 v6, 0x8000, v7, v6
	v_cndmask_b32_e64 v8, 0, 1, vcc_lo
	v_cmp_lt_i32_e32 vcc_lo, 5, v20
	v_cmp_eq_u32_e64 s0, 3, v20
	v_and_or_b32 v10, 0x1ff, v11, v10
	v_and_b32_e32 v20, 0xffff, v21
	v_and_or_b32 v8, 0xffe, v14, v8
	v_sub_nc_u32_e32 v14, 0x3f1, v17
	s_or_b32 vcc_lo, s0, vcc_lo
	v_lshrrev_b32_e32 v22, 8, v11
	v_add_co_ci_u32_e32 v16, vcc_lo, 0, v16, vcc_lo
	v_or_b32_e32 v7, 0x1000, v8
	v_med3_i32 v14, v14, 0, 13
	v_cmp_ne_u32_e32 vcc_lo, 0, v10
	v_bfe_u32 v23, v11, 20, 11
	v_lshrrev_b32_e32 v21, v14, v7
	v_cndmask_b32_e64 v10, 0, 1, vcc_lo
	v_cmp_ne_u32_e32 vcc_lo, 0, v0
	v_and_or_b32 v4, 0x1ff, v5, v4
	v_lshrrev_b32_e32 v24, 8, v5
	v_lshlrev_b32_e32 v14, v14, v21
	v_and_or_b32 v10, 0xffe, v22, v10
	v_cndmask_b32_e64 v0, 0, 1, vcc_lo
	v_sub_nc_u32_e32 v22, 0x3f1, v23
	v_bfe_u32 v25, v5, 20, 11
	v_cmp_ne_u32_e32 vcc_lo, v14, v7
	v_add_nc_u32_e32 v14, 0xfffffc10, v17
	v_or_b32_e32 v17, 0x1000, v10
	v_med3_i32 v22, v22, 0, 13
	v_lshl_or_b32 v0, v0, 9, 0x7c00
	v_cndmask_b32_e64 v7, 0, 1, vcc_lo
	v_cmp_gt_i32_e32 vcc_lo, 31, v15
	v_lshrrev_b32_e32 v5, 16, v5
	v_lshrrev_b32_e32 v26, v22, v17
	v_or_b32_e32 v7, v21, v7
	v_cndmask_b32_e32 v16, 0x7c00, v16, vcc_lo
	v_cmp_ne_u32_e32 vcc_lo, 0, v4
	v_lshl_or_b32 v21, v14, 12, v8
	v_cndmask_b32_e64 v4, 0, 1, vcc_lo
	v_cmp_gt_i32_e32 vcc_lo, 1, v14
	v_and_or_b32 v4, 0xffe, v24, v4
	v_sub_nc_u32_e32 v24, 0x3f1, v25
	v_cndmask_b32_e32 v7, v21, v7, vcc_lo
	v_lshlrev_b32_e32 v21, v22, v26
	v_cmp_eq_u32_e32 vcc_lo, 0x40f, v15
	v_or_b32_e32 v22, 0x1000, v4
	v_med3_i32 v24, v24, 0, 13
	v_and_b32_e32 v27, 7, v7
	v_lshrrev_b32_e32 v7, 2, v7
	v_cndmask_b32_e32 v0, v16, v0, vcc_lo
	v_cmp_ne_u32_e32 vcc_lo, v21, v17
	v_add_nc_u32_e32 v16, 0xfffffc10, v23
	v_lshrrev_b32_e32 v17, v24, v22
	v_cmp_eq_u32_e64 s0, 3, v27
	v_and_or_b32 v0, 0x8000, v1, v0
	v_cndmask_b32_e64 v15, 0, 1, vcc_lo
	v_lshl_or_b32 v21, v16, 12, v10
	v_lshlrev_b32_e32 v23, v24, v17
	v_cmp_gt_i32_e64 s1, 1, v16
	v_cmp_lt_i32_e32 vcc_lo, 5, v27
	v_or_b32_e32 v15, v26, v15
	s_or_b32 vcc_lo, s0, vcc_lo
	v_cndmask_b32_e64 v15, v21, v15, s1
	v_cmp_ne_u32_e64 s1, v23, v22
	v_add_nc_u32_e32 v22, 0xfffffc10, v25
	v_add_co_ci_u32_e32 v7, vcc_lo, 0, v7, vcc_lo
	v_and_b32_e32 v23, 7, v15
	v_cndmask_b32_e64 v21, 0, 1, s1
	v_cmp_ne_u32_e32 vcc_lo, 0, v8
	v_cmp_gt_i32_e64 s0, 1, v22
	v_lshrrev_b32_e32 v15, 2, v15
	v_cmp_gt_i32_e64 s1, 31, v14
	v_or_b32_e32 v17, v17, v21
	v_lshl_or_b32 v21, v22, 12, v4
	v_cndmask_b32_e64 v8, 0, 1, vcc_lo
	v_cmp_lt_i32_e32 vcc_lo, 5, v23
	v_cndmask_b32_e64 v7, 0x7c00, v7, s1
	v_cmp_eq_u32_e64 s1, 0x40f, v14
	v_cndmask_b32_e64 v1, v21, v17, s0
	v_cmp_eq_u32_e64 s0, 3, v23
	v_lshl_or_b32 v8, v8, 9, 0x7c00
	v_and_b32_e32 v17, 7, v1
	s_or_b32 vcc_lo, s0, vcc_lo
	v_lshrrev_b32_e32 v1, 2, v1
	v_add_co_ci_u32_e32 v15, vcc_lo, 0, v15, vcc_lo
	v_cmp_ne_u32_e32 vcc_lo, 0, v10
	v_cmp_eq_u32_e64 s0, 3, v17
	v_cndmask_b32_e64 v7, v7, v8, s1
	v_cmp_gt_i32_e64 s1, 31, v16
	v_cndmask_b32_e64 v10, 0, 1, vcc_lo
	v_cmp_lt_i32_e32 vcc_lo, 5, v17
	v_cndmask_b32_e64 v8, 0x7c00, v15, s1
	v_lshl_or_b32 v10, v10, 9, 0x7c00
	s_or_b32 vcc_lo, s0, vcc_lo
	v_add_co_ci_u32_e32 v1, vcc_lo, 0, v1, vcc_lo
	v_cmp_ne_u32_e32 vcc_lo, 0, v4
	v_cndmask_b32_e64 v4, 0, 1, vcc_lo
	v_cmp_eq_u32_e32 vcc_lo, 0x40f, v16
	v_lshl_or_b32 v4, v4, 9, 0x7c00
	v_cndmask_b32_e32 v8, v8, v10, vcc_lo
	v_cmp_gt_i32_e32 vcc_lo, 31, v22
	v_lshrrev_b32_e32 v10, 16, v11
	v_lshl_or_b32 v11, v6, 16, v20
	v_and_or_b32 v6, 0x8000, v9, v7
	v_and_b32_e32 v7, 0xffff, v0
	v_cndmask_b32_e32 v1, 0x7c00, v1, vcc_lo
	v_cmp_eq_u32_e32 vcc_lo, 0x40f, v22
	v_and_or_b32 v8, 0x8000, v10, v8
	v_lshl_or_b32 v9, v6, 16, v7
	v_cndmask_b32_e32 v4, v1, v4, vcc_lo
	v_add_co_u32 v0, vcc_lo, v12, s25
	v_add_co_ci_u32_e32 v1, vcc_lo, s28, v13, vcc_lo
	v_and_or_b32 v6, 0x8000, v5, v4
	v_and_b32_e32 v7, 0xffff, v8
	v_add_co_u32 v4, vcc_lo, v0, s25
	v_add_co_ci_u32_e32 v5, vcc_lo, s28, v1, vcc_lo
	v_lshl_or_b32 v8, v6, 16, v7
	v_add_co_u32 v6, vcc_lo, v4, s25
	v_add_co_ci_u32_e32 v7, vcc_lo, s28, v5, vcc_lo
	global_store_dword v[2:3], v18, off
	global_store_dword v[12:13], v19, off
	;; [unrolled: 1-line block ×5, first 2 shown]
.LBB0_2:
	s_endpgm
	.section	.rodata,"a",@progbits
	.p2align	6, 0x0
	.amdhsa_kernel bluestein_single_fwd_len2500_dim1_half_op_CI_CI
		.amdhsa_group_segment_fixed_size 10000
		.amdhsa_private_segment_fixed_size 0
		.amdhsa_kernarg_size 104
		.amdhsa_user_sgpr_count 6
		.amdhsa_user_sgpr_private_segment_buffer 1
		.amdhsa_user_sgpr_dispatch_ptr 0
		.amdhsa_user_sgpr_queue_ptr 0
		.amdhsa_user_sgpr_kernarg_segment_ptr 1
		.amdhsa_user_sgpr_dispatch_id 0
		.amdhsa_user_sgpr_flat_scratch_init 0
		.amdhsa_user_sgpr_private_segment_size 0
		.amdhsa_wavefront_size32 1
		.amdhsa_uses_dynamic_stack 0
		.amdhsa_system_sgpr_private_segment_wavefront_offset 0
		.amdhsa_system_sgpr_workgroup_id_x 1
		.amdhsa_system_sgpr_workgroup_id_y 0
		.amdhsa_system_sgpr_workgroup_id_z 0
		.amdhsa_system_sgpr_workgroup_info 0
		.amdhsa_system_vgpr_workitem_id 0
		.amdhsa_next_free_vgpr 91
		.amdhsa_next_free_sgpr 29
		.amdhsa_reserve_vcc 1
		.amdhsa_reserve_flat_scratch 0
		.amdhsa_float_round_mode_32 0
		.amdhsa_float_round_mode_16_64 0
		.amdhsa_float_denorm_mode_32 3
		.amdhsa_float_denorm_mode_16_64 3
		.amdhsa_dx10_clamp 1
		.amdhsa_ieee_mode 1
		.amdhsa_fp16_overflow 0
		.amdhsa_workgroup_processor_mode 1
		.amdhsa_memory_ordered 1
		.amdhsa_forward_progress 0
		.amdhsa_shared_vgpr_count 0
		.amdhsa_exception_fp_ieee_invalid_op 0
		.amdhsa_exception_fp_denorm_src 0
		.amdhsa_exception_fp_ieee_div_zero 0
		.amdhsa_exception_fp_ieee_overflow 0
		.amdhsa_exception_fp_ieee_underflow 0
		.amdhsa_exception_fp_ieee_inexact 0
		.amdhsa_exception_int_div_zero 0
	.end_amdhsa_kernel
	.text
.Lfunc_end0:
	.size	bluestein_single_fwd_len2500_dim1_half_op_CI_CI, .Lfunc_end0-bluestein_single_fwd_len2500_dim1_half_op_CI_CI
                                        ; -- End function
	.section	.AMDGPU.csdata,"",@progbits
; Kernel info:
; codeLenInByte = 17352
; NumSgprs: 31
; NumVgprs: 91
; ScratchSize: 0
; MemoryBound: 0
; FloatMode: 240
; IeeeMode: 1
; LDSByteSize: 10000 bytes/workgroup (compile time only)
; SGPRBlocks: 3
; VGPRBlocks: 11
; NumSGPRsForWavesPerEU: 31
; NumVGPRsForWavesPerEU: 91
; Occupancy: 10
; WaveLimiterHint : 1
; COMPUTE_PGM_RSRC2:SCRATCH_EN: 0
; COMPUTE_PGM_RSRC2:USER_SGPR: 6
; COMPUTE_PGM_RSRC2:TRAP_HANDLER: 0
; COMPUTE_PGM_RSRC2:TGID_X_EN: 1
; COMPUTE_PGM_RSRC2:TGID_Y_EN: 0
; COMPUTE_PGM_RSRC2:TGID_Z_EN: 0
; COMPUTE_PGM_RSRC2:TIDIG_COMP_CNT: 0
	.text
	.p2alignl 6, 3214868480
	.fill 48, 4, 3214868480
	.type	__hip_cuid_75929e6f07d5e77b,@object ; @__hip_cuid_75929e6f07d5e77b
	.section	.bss,"aw",@nobits
	.globl	__hip_cuid_75929e6f07d5e77b
__hip_cuid_75929e6f07d5e77b:
	.byte	0                               ; 0x0
	.size	__hip_cuid_75929e6f07d5e77b, 1

	.ident	"AMD clang version 19.0.0git (https://github.com/RadeonOpenCompute/llvm-project roc-6.4.0 25133 c7fe45cf4b819c5991fe208aaa96edf142730f1d)"
	.section	".note.GNU-stack","",@progbits
	.addrsig
	.addrsig_sym __hip_cuid_75929e6f07d5e77b
	.amdgpu_metadata
---
amdhsa.kernels:
  - .args:
      - .actual_access:  read_only
        .address_space:  global
        .offset:         0
        .size:           8
        .value_kind:     global_buffer
      - .actual_access:  read_only
        .address_space:  global
        .offset:         8
        .size:           8
        .value_kind:     global_buffer
      - .actual_access:  read_only
        .address_space:  global
        .offset:         16
        .size:           8
        .value_kind:     global_buffer
      - .actual_access:  read_only
        .address_space:  global
        .offset:         24
        .size:           8
        .value_kind:     global_buffer
      - .actual_access:  read_only
        .address_space:  global
        .offset:         32
        .size:           8
        .value_kind:     global_buffer
      - .offset:         40
        .size:           8
        .value_kind:     by_value
      - .address_space:  global
        .offset:         48
        .size:           8
        .value_kind:     global_buffer
      - .address_space:  global
        .offset:         56
        .size:           8
        .value_kind:     global_buffer
      - .address_space:  global
        .offset:         64
        .size:           8
        .value_kind:     global_buffer
      - .address_space:  global
        .offset:         72
        .size:           8
        .value_kind:     global_buffer
      - .offset:         80
        .size:           4
        .value_kind:     by_value
      - .address_space:  global
        .offset:         88
        .size:           8
        .value_kind:     global_buffer
      - .address_space:  global
        .offset:         96
        .size:           8
        .value_kind:     global_buffer
    .group_segment_fixed_size: 10000
    .kernarg_segment_align: 8
    .kernarg_segment_size: 104
    .language:       OpenCL C
    .language_version:
      - 2
      - 0
    .max_flat_workgroup_size: 250
    .name:           bluestein_single_fwd_len2500_dim1_half_op_CI_CI
    .private_segment_fixed_size: 0
    .sgpr_count:     31
    .sgpr_spill_count: 0
    .symbol:         bluestein_single_fwd_len2500_dim1_half_op_CI_CI.kd
    .uniform_work_group_size: 1
    .uses_dynamic_stack: false
    .vgpr_count:     91
    .vgpr_spill_count: 0
    .wavefront_size: 32
    .workgroup_processor_mode: 1
amdhsa.target:   amdgcn-amd-amdhsa--gfx1030
amdhsa.version:
  - 1
  - 2
...

	.end_amdgpu_metadata
